;; amdgpu-corpus repo=ROCm/rocFFT kind=compiled arch=gfx906 opt=O3
	.text
	.amdgcn_target "amdgcn-amd-amdhsa--gfx906"
	.amdhsa_code_object_version 6
	.protected	fft_rtc_back_len1734_factors_17_17_6_wgs_102_tpt_102_halfLds_sp_op_CI_CI_unitstride_sbrr_C2R_dirReg ; -- Begin function fft_rtc_back_len1734_factors_17_17_6_wgs_102_tpt_102_halfLds_sp_op_CI_CI_unitstride_sbrr_C2R_dirReg
	.globl	fft_rtc_back_len1734_factors_17_17_6_wgs_102_tpt_102_halfLds_sp_op_CI_CI_unitstride_sbrr_C2R_dirReg
	.p2align	8
	.type	fft_rtc_back_len1734_factors_17_17_6_wgs_102_tpt_102_halfLds_sp_op_CI_CI_unitstride_sbrr_C2R_dirReg,@function
fft_rtc_back_len1734_factors_17_17_6_wgs_102_tpt_102_halfLds_sp_op_CI_CI_unitstride_sbrr_C2R_dirReg: ; @fft_rtc_back_len1734_factors_17_17_6_wgs_102_tpt_102_halfLds_sp_op_CI_CI_unitstride_sbrr_C2R_dirReg
; %bb.0:
	s_load_dwordx4 s[8:11], s[4:5], 0x58
	s_load_dwordx4 s[12:15], s[4:5], 0x0
	;; [unrolled: 1-line block ×3, first 2 shown]
	v_mul_u32_u24_e32 v1, 0x283, v0
	v_add_u32_sdwa v5, s6, v1 dst_sel:DWORD dst_unused:UNUSED_PAD src0_sel:DWORD src1_sel:WORD_1
	v_mov_b32_e32 v3, 0
	s_waitcnt lgkmcnt(0)
	v_cmp_lt_u64_e64 s[0:1], s[14:15], 2
	v_mov_b32_e32 v1, 0
	v_mov_b32_e32 v6, v3
	s_and_b64 vcc, exec, s[0:1]
	v_mov_b32_e32 v2, 0
	s_cbranch_vccnz .LBB0_8
; %bb.1:
	s_load_dwordx2 s[0:1], s[4:5], 0x10
	s_add_u32 s2, s18, 8
	s_addc_u32 s3, s19, 0
	s_add_u32 s6, s16, 8
	v_mov_b32_e32 v1, 0
	s_addc_u32 s7, s17, 0
	v_mov_b32_e32 v2, 0
	s_waitcnt lgkmcnt(0)
	s_add_u32 s20, s0, 8
	v_mov_b32_e32 v25, v2
	s_addc_u32 s21, s1, 0
	s_mov_b64 s[22:23], 1
	v_mov_b32_e32 v24, v1
.LBB0_2:                                ; =>This Inner Loop Header: Depth=1
	s_load_dwordx2 s[24:25], s[20:21], 0x0
                                        ; implicit-def: $vgpr28_vgpr29
	s_waitcnt lgkmcnt(0)
	v_or_b32_e32 v4, s25, v6
	v_cmp_ne_u64_e32 vcc, 0, v[3:4]
	s_and_saveexec_b64 s[0:1], vcc
	s_xor_b64 s[26:27], exec, s[0:1]
	s_cbranch_execz .LBB0_4
; %bb.3:                                ;   in Loop: Header=BB0_2 Depth=1
	v_cvt_f32_u32_e32 v4, s24
	v_cvt_f32_u32_e32 v7, s25
	s_sub_u32 s0, 0, s24
	s_subb_u32 s1, 0, s25
	v_mac_f32_e32 v4, 0x4f800000, v7
	v_rcp_f32_e32 v4, v4
	v_mul_f32_e32 v4, 0x5f7ffffc, v4
	v_mul_f32_e32 v7, 0x2f800000, v4
	v_trunc_f32_e32 v7, v7
	v_mac_f32_e32 v4, 0xcf800000, v7
	v_cvt_u32_f32_e32 v7, v7
	v_cvt_u32_f32_e32 v4, v4
	v_mul_lo_u32 v8, s0, v7
	v_mul_hi_u32 v9, s0, v4
	v_mul_lo_u32 v11, s1, v4
	v_mul_lo_u32 v10, s0, v4
	v_add_u32_e32 v8, v9, v8
	v_add_u32_e32 v8, v8, v11
	v_mul_hi_u32 v9, v4, v10
	v_mul_lo_u32 v11, v4, v8
	v_mul_hi_u32 v13, v4, v8
	v_mul_hi_u32 v12, v7, v10
	v_mul_lo_u32 v10, v7, v10
	v_mul_hi_u32 v14, v7, v8
	v_add_co_u32_e32 v9, vcc, v9, v11
	v_addc_co_u32_e32 v11, vcc, 0, v13, vcc
	v_mul_lo_u32 v8, v7, v8
	v_add_co_u32_e32 v9, vcc, v9, v10
	v_addc_co_u32_e32 v9, vcc, v11, v12, vcc
	v_addc_co_u32_e32 v10, vcc, 0, v14, vcc
	v_add_co_u32_e32 v8, vcc, v9, v8
	v_addc_co_u32_e32 v9, vcc, 0, v10, vcc
	v_add_co_u32_e32 v4, vcc, v4, v8
	v_addc_co_u32_e32 v7, vcc, v7, v9, vcc
	v_mul_lo_u32 v8, s0, v7
	v_mul_hi_u32 v9, s0, v4
	v_mul_lo_u32 v10, s1, v4
	v_mul_lo_u32 v11, s0, v4
	v_add_u32_e32 v8, v9, v8
	v_add_u32_e32 v8, v8, v10
	v_mul_lo_u32 v12, v4, v8
	v_mul_hi_u32 v13, v4, v11
	v_mul_hi_u32 v14, v4, v8
	v_mul_hi_u32 v10, v7, v11
	v_mul_lo_u32 v11, v7, v11
	v_mul_hi_u32 v9, v7, v8
	v_add_co_u32_e32 v12, vcc, v13, v12
	v_addc_co_u32_e32 v13, vcc, 0, v14, vcc
	v_mul_lo_u32 v8, v7, v8
	v_add_co_u32_e32 v11, vcc, v12, v11
	v_addc_co_u32_e32 v10, vcc, v13, v10, vcc
	v_addc_co_u32_e32 v9, vcc, 0, v9, vcc
	v_add_co_u32_e32 v8, vcc, v10, v8
	v_addc_co_u32_e32 v9, vcc, 0, v9, vcc
	v_add_co_u32_e32 v4, vcc, v4, v8
	v_addc_co_u32_e32 v9, vcc, v7, v9, vcc
	v_mad_u64_u32 v[7:8], s[0:1], v5, v9, 0
	v_mul_hi_u32 v10, v5, v4
	v_add_co_u32_e32 v11, vcc, v10, v7
	v_addc_co_u32_e32 v12, vcc, 0, v8, vcc
	v_mad_u64_u32 v[7:8], s[0:1], v6, v4, 0
	v_mad_u64_u32 v[9:10], s[0:1], v6, v9, 0
	v_add_co_u32_e32 v4, vcc, v11, v7
	v_addc_co_u32_e32 v4, vcc, v12, v8, vcc
	v_addc_co_u32_e32 v7, vcc, 0, v10, vcc
	v_add_co_u32_e32 v4, vcc, v4, v9
	v_addc_co_u32_e32 v9, vcc, 0, v7, vcc
	v_mul_lo_u32 v10, s25, v4
	v_mul_lo_u32 v11, s24, v9
	v_mad_u64_u32 v[7:8], s[0:1], s24, v4, 0
	v_add3_u32 v8, v8, v11, v10
	v_sub_u32_e32 v10, v6, v8
	v_mov_b32_e32 v11, s25
	v_sub_co_u32_e32 v7, vcc, v5, v7
	v_subb_co_u32_e64 v10, s[0:1], v10, v11, vcc
	v_subrev_co_u32_e64 v11, s[0:1], s24, v7
	v_subbrev_co_u32_e64 v10, s[0:1], 0, v10, s[0:1]
	v_cmp_le_u32_e64 s[0:1], s25, v10
	v_cndmask_b32_e64 v12, 0, -1, s[0:1]
	v_cmp_le_u32_e64 s[0:1], s24, v11
	v_cndmask_b32_e64 v11, 0, -1, s[0:1]
	v_cmp_eq_u32_e64 s[0:1], s25, v10
	v_cndmask_b32_e64 v10, v12, v11, s[0:1]
	v_add_co_u32_e64 v11, s[0:1], 2, v4
	v_addc_co_u32_e64 v12, s[0:1], 0, v9, s[0:1]
	v_add_co_u32_e64 v13, s[0:1], 1, v4
	v_addc_co_u32_e64 v14, s[0:1], 0, v9, s[0:1]
	v_subb_co_u32_e32 v8, vcc, v6, v8, vcc
	v_cmp_ne_u32_e64 s[0:1], 0, v10
	v_cmp_le_u32_e32 vcc, s25, v8
	v_cndmask_b32_e64 v10, v14, v12, s[0:1]
	v_cndmask_b32_e64 v12, 0, -1, vcc
	v_cmp_le_u32_e32 vcc, s24, v7
	v_cndmask_b32_e64 v7, 0, -1, vcc
	v_cmp_eq_u32_e32 vcc, s25, v8
	v_cndmask_b32_e32 v7, v12, v7, vcc
	v_cmp_ne_u32_e32 vcc, 0, v7
	v_cndmask_b32_e64 v7, v13, v11, s[0:1]
	v_cndmask_b32_e32 v29, v9, v10, vcc
	v_cndmask_b32_e32 v28, v4, v7, vcc
.LBB0_4:                                ;   in Loop: Header=BB0_2 Depth=1
	s_andn2_saveexec_b64 s[0:1], s[26:27]
	s_cbranch_execz .LBB0_6
; %bb.5:                                ;   in Loop: Header=BB0_2 Depth=1
	v_cvt_f32_u32_e32 v4, s24
	s_sub_i32 s26, 0, s24
	v_mov_b32_e32 v29, v3
	v_rcp_iflag_f32_e32 v4, v4
	v_mul_f32_e32 v4, 0x4f7ffffe, v4
	v_cvt_u32_f32_e32 v4, v4
	v_mul_lo_u32 v7, s26, v4
	v_mul_hi_u32 v7, v4, v7
	v_add_u32_e32 v4, v4, v7
	v_mul_hi_u32 v4, v5, v4
	v_mul_lo_u32 v7, v4, s24
	v_add_u32_e32 v8, 1, v4
	v_sub_u32_e32 v7, v5, v7
	v_subrev_u32_e32 v9, s24, v7
	v_cmp_le_u32_e32 vcc, s24, v7
	v_cndmask_b32_e32 v7, v7, v9, vcc
	v_cndmask_b32_e32 v4, v4, v8, vcc
	v_add_u32_e32 v8, 1, v4
	v_cmp_le_u32_e32 vcc, s24, v7
	v_cndmask_b32_e32 v28, v4, v8, vcc
.LBB0_6:                                ;   in Loop: Header=BB0_2 Depth=1
	s_or_b64 exec, exec, s[0:1]
	v_mul_lo_u32 v4, v29, s24
	v_mul_lo_u32 v9, v28, s25
	v_mad_u64_u32 v[7:8], s[0:1], v28, s24, 0
	s_load_dwordx2 s[0:1], s[6:7], 0x0
	s_load_dwordx2 s[24:25], s[2:3], 0x0
	v_add3_u32 v4, v8, v9, v4
	v_sub_co_u32_e32 v5, vcc, v5, v7
	v_subb_co_u32_e32 v4, vcc, v6, v4, vcc
	s_waitcnt lgkmcnt(0)
	v_mul_lo_u32 v6, s0, v4
	v_mul_lo_u32 v7, s1, v5
	v_mad_u64_u32 v[1:2], s[0:1], s0, v5, v[1:2]
	v_mul_lo_u32 v4, s24, v4
	v_mul_lo_u32 v8, s25, v5
	v_mad_u64_u32 v[24:25], s[0:1], s24, v5, v[24:25]
	s_add_u32 s22, s22, 1
	s_addc_u32 s23, s23, 0
	s_add_u32 s2, s2, 8
	v_add3_u32 v25, v8, v25, v4
	s_addc_u32 s3, s3, 0
	v_mov_b32_e32 v4, s14
	s_add_u32 s6, s6, 8
	v_mov_b32_e32 v5, s15
	s_addc_u32 s7, s7, 0
	v_cmp_ge_u64_e32 vcc, s[22:23], v[4:5]
	s_add_u32 s20, s20, 8
	v_add3_u32 v2, v7, v2, v6
	s_addc_u32 s21, s21, 0
	s_cbranch_vccnz .LBB0_9
; %bb.7:                                ;   in Loop: Header=BB0_2 Depth=1
	v_mov_b32_e32 v5, v28
	v_mov_b32_e32 v6, v29
	s_branch .LBB0_2
.LBB0_8:
	v_mov_b32_e32 v25, v2
	v_mov_b32_e32 v29, v6
	;; [unrolled: 1-line block ×4, first 2 shown]
.LBB0_9:
	s_load_dwordx2 s[2:3], s[4:5], 0x28
	s_lshl_b64 s[6:7], s[14:15], 3
	s_add_u32 s4, s18, s6
	s_addc_u32 s5, s19, s7
                                        ; implicit-def: $vgpr26
	s_waitcnt lgkmcnt(0)
	v_cmp_gt_u64_e64 s[0:1], s[2:3], v[28:29]
	v_cmp_le_u64_e32 vcc, s[2:3], v[28:29]
	s_and_saveexec_b64 s[2:3], vcc
	s_xor_b64 s[2:3], exec, s[2:3]
; %bb.10:
	s_mov_b32 s14, 0x2828283
	v_mul_hi_u32 v1, v0, s14
	v_mul_u32_u24_e32 v1, 0x66, v1
	v_sub_u32_e32 v26, v0, v1
                                        ; implicit-def: $vgpr0
                                        ; implicit-def: $vgpr1_vgpr2
; %bb.11:
	s_or_saveexec_b64 s[2:3], s[2:3]
	s_load_dwordx2 s[4:5], s[4:5], 0x0
	s_xor_b64 exec, exec, s[2:3]
	s_cbranch_execz .LBB0_15
; %bb.12:
	s_add_u32 s6, s16, s6
	s_addc_u32 s7, s17, s7
	s_load_dwordx2 s[6:7], s[6:7], 0x0
	s_mov_b32 s14, 0x2828283
	v_mul_hi_u32 v5, v0, s14
	v_lshlrev_b64 v[1:2], 3, v[1:2]
	s_waitcnt lgkmcnt(0)
	v_mul_lo_u32 v6, s7, v28
	v_mul_lo_u32 v7, s6, v29
	v_mad_u64_u32 v[3:4], s[6:7], s6, v28, 0
	v_mul_u32_u24_e32 v5, 0x66, v5
	v_sub_u32_e32 v26, v0, v5
	v_add3_u32 v4, v4, v7, v6
	v_lshlrev_b64 v[3:4], 3, v[3:4]
	v_mov_b32_e32 v0, s9
	v_add_co_u32_e32 v3, vcc, s8, v3
	v_addc_co_u32_e32 v0, vcc, v0, v4, vcc
	v_add_co_u32_e32 v1, vcc, v3, v1
	v_addc_co_u32_e32 v0, vcc, v0, v2, vcc
	v_lshlrev_b32_e32 v27, 3, v26
	v_add_co_u32_e32 v2, vcc, v1, v27
	v_addc_co_u32_e32 v3, vcc, 0, v0, vcc
	s_movk_i32 s6, 0x1000
	v_add_co_u32_e32 v6, vcc, s6, v2
	v_addc_co_u32_e32 v7, vcc, 0, v3, vcc
	s_movk_i32 s6, 0x2000
	v_add_co_u32_e32 v22, vcc, s6, v2
	global_load_dwordx2 v[4:5], v[2:3], off offset:2448
	global_load_dwordx2 v[8:9], v[2:3], off offset:3264
	;; [unrolled: 1-line block ×5, first 2 shown]
	global_load_dwordx2 v[16:17], v[2:3], off
	global_load_dwordx2 v[18:19], v[2:3], off offset:1632
	global_load_dwordx2 v[20:21], v[2:3], off offset:816
	v_addc_co_u32_e32 v23, vcc, 0, v3, vcc
	global_load_dwordx2 v[30:31], v[6:7], off offset:2432
	global_load_dwordx2 v[32:33], v[6:7], off offset:3248
	;; [unrolled: 1-line block ×8, first 2 shown]
	v_add_co_u32_e32 v2, vcc, 0x3000, v2
	v_addc_co_u32_e32 v3, vcc, 0, v3, vcc
	global_load_dwordx2 v[2:3], v[2:3], off offset:768
	s_movk_i32 s6, 0x65
	v_add_u32_e32 v6, 0, v27
	v_add_u32_e32 v7, 0x400, v6
	v_cmp_eq_u32_e32 vcc, s6, v26
	v_add_u32_e32 v22, 0x800, v6
	v_add_u32_e32 v23, 0x1000, v6
	;; [unrolled: 1-line block ×6, first 2 shown]
	s_waitcnt vmcnt(10)
	ds_write2_b64 v7, v[18:19], v[4:5] offset0:76 offset1:178
	ds_write2_b64 v22, v[8:9], v[10:11] offset0:152 offset1:254
	s_waitcnt vmcnt(9)
	ds_write2_b64 v6, v[16:17], v[20:21] offset1:102
	ds_write2_b64 v23, v[12:13], v[14:15] offset0:100 offset1:202
	s_waitcnt vmcnt(7)
	ds_write2_b64 v27, v[30:31], v[32:33] offset0:48 offset1:150
	s_waitcnt vmcnt(5)
	;; [unrolled: 2-line block ×5, first 2 shown]
	ds_write_b64 v6, v[2:3] offset:13056
	s_and_saveexec_b64 s[6:7], vcc
	s_cbranch_execz .LBB0_14
; %bb.13:
	v_add_co_u32_e32 v1, vcc, 0x3000, v1
	v_addc_co_u32_e32 v2, vcc, 0, v0, vcc
	global_load_dwordx2 v[0:1], v[1:2], off offset:1584
	v_mov_b32_e32 v2, 0
	v_mov_b32_e32 v26, 0x65
	s_waitcnt vmcnt(0)
	ds_write_b64 v2, v[0:1] offset:13872
.LBB0_14:
	s_or_b64 exec, exec, s[6:7]
.LBB0_15:
	s_or_b64 exec, exec, s[2:3]
	v_lshlrev_b32_e32 v0, 3, v26
	v_add_u32_e32 v44, 0, v0
	s_waitcnt lgkmcnt(0)
	s_barrier
	v_sub_u32_e32 v4, 0, v0
	ds_read_b32 v5, v44
	ds_read_b32 v6, v4 offset:13872
	s_add_u32 s6, s12, 0x35a8
	s_addc_u32 s7, s13, 0
	v_cmp_ne_u32_e32 vcc, 0, v26
                                        ; implicit-def: $vgpr0_vgpr1
	s_waitcnt lgkmcnt(0)
	v_add_f32_e32 v2, v6, v5
	v_sub_f32_e32 v3, v5, v6
	s_and_saveexec_b64 s[2:3], vcc
	s_xor_b64 s[2:3], exec, s[2:3]
	s_cbranch_execz .LBB0_17
; %bb.16:
	v_mov_b32_e32 v27, 0
	v_lshlrev_b64 v[0:1], 3, v[26:27]
	v_mov_b32_e32 v2, s7
	v_add_co_u32_e32 v0, vcc, s6, v0
	v_addc_co_u32_e32 v1, vcc, v2, v1, vcc
	global_load_dwordx2 v[0:1], v[0:1], off
	ds_read_b32 v2, v4 offset:13876
	ds_read_b32 v3, v44 offset:4
	v_add_f32_e32 v7, v6, v5
	v_sub_f32_e32 v8, v5, v6
	s_waitcnt lgkmcnt(0)
	v_add_f32_e32 v9, v2, v3
	v_sub_f32_e32 v2, v3, v2
	s_waitcnt vmcnt(0)
	v_fma_f32 v10, v8, v1, v7
	v_fma_f32 v3, v9, v1, v2
	v_fma_f32 v5, -v8, v1, v7
	v_fma_f32 v6, v9, v1, -v2
	v_fma_f32 v2, -v0, v9, v10
	v_fmac_f32_e32 v3, v8, v0
	v_fmac_f32_e32 v5, v0, v9
	;; [unrolled: 1-line block ×3, first 2 shown]
	v_mov_b32_e32 v0, v26
	ds_write_b64 v4, v[5:6] offset:13872
	v_mov_b32_e32 v1, v27
.LBB0_17:
	s_andn2_saveexec_b64 s[2:3], s[2:3]
	s_cbranch_execz .LBB0_19
; %bb.18:
	v_mov_b32_e32 v7, 0
	ds_read_b64 v[0:1], v7 offset:6936
	s_waitcnt lgkmcnt(0)
	v_add_f32_e32 v5, v0, v0
	v_mul_f32_e32 v6, -2.0, v1
	v_mov_b32_e32 v0, 0
	v_mov_b32_e32 v1, 0
	ds_write_b64 v7, v[5:6] offset:6936
.LBB0_19:
	s_or_b64 exec, exec, s[2:3]
	v_lshlrev_b64 v[0:1], 3, v[0:1]
	v_mov_b32_e32 v5, s7
	v_add_co_u32_e32 v0, vcc, s6, v0
	v_addc_co_u32_e32 v1, vcc, v5, v1, vcc
	global_load_dwordx2 v[5:6], v[0:1], off offset:816
	global_load_dwordx2 v[7:8], v[0:1], off offset:1632
	;; [unrolled: 1-line block ×4, first 2 shown]
	ds_write_b64 v44, v[2:3]
	ds_read_b64 v[2:3], v44 offset:816
	ds_read_b64 v[13:14], v4 offset:13056
	global_load_dwordx2 v[15:16], v[0:1], off offset:4080
	s_movk_i32 s2, 0x1000
	s_waitcnt lgkmcnt(0)
	v_add_f32_e32 v17, v2, v13
	v_add_f32_e32 v18, v14, v3
	v_sub_f32_e32 v19, v2, v13
	v_sub_f32_e32 v2, v3, v14
	s_waitcnt vmcnt(4)
	v_fma_f32 v20, v19, v6, v17
	v_fma_f32 v3, v18, v6, v2
	v_fma_f32 v13, -v19, v6, v17
	v_fma_f32 v14, v18, v6, -v2
	v_fma_f32 v2, -v5, v18, v20
	v_fmac_f32_e32 v3, v19, v5
	v_fmac_f32_e32 v13, v5, v18
	;; [unrolled: 1-line block ×3, first 2 shown]
	ds_write_b64 v44, v[2:3] offset:816
	ds_write_b64 v4, v[13:14] offset:13056
	v_add_co_u32_e32 v13, vcc, s2, v0
	v_addc_co_u32_e32 v14, vcc, 0, v1, vcc
	ds_read_b64 v[2:3], v44 offset:1632
	ds_read_b64 v[5:6], v4 offset:12240
	global_load_dwordx2 v[17:18], v[13:14], off offset:800
	v_cmp_gt_u32_e32 vcc, 51, v26
	s_waitcnt lgkmcnt(0)
	v_add_f32_e32 v19, v2, v5
	v_add_f32_e32 v20, v6, v3
	v_sub_f32_e32 v21, v2, v5
	v_sub_f32_e32 v2, v3, v6
	s_waitcnt vmcnt(4)
	v_fma_f32 v22, v21, v8, v19
	v_fma_f32 v3, v20, v8, v2
	v_fma_f32 v5, -v21, v8, v19
	v_fma_f32 v6, v20, v8, -v2
	v_fma_f32 v2, -v7, v20, v22
	v_fmac_f32_e32 v3, v21, v7
	v_fmac_f32_e32 v5, v7, v20
	;; [unrolled: 1-line block ×3, first 2 shown]
	ds_write_b64 v44, v[2:3] offset:1632
	ds_write_b64 v4, v[5:6] offset:12240
	ds_read_b64 v[2:3], v44 offset:2448
	ds_read_b64 v[5:6], v4 offset:11424
	global_load_dwordx2 v[7:8], v[13:14], off offset:1616
	s_waitcnt lgkmcnt(0)
	v_add_f32_e32 v13, v2, v5
	v_add_f32_e32 v14, v6, v3
	v_sub_f32_e32 v19, v2, v5
	v_sub_f32_e32 v2, v3, v6
	s_waitcnt vmcnt(4)
	v_fma_f32 v20, v19, v10, v13
	v_fma_f32 v3, v14, v10, v2
	v_fma_f32 v5, -v19, v10, v13
	v_fma_f32 v6, v14, v10, -v2
	v_fma_f32 v2, -v9, v14, v20
	v_fmac_f32_e32 v3, v19, v9
	v_fmac_f32_e32 v5, v9, v14
	v_fmac_f32_e32 v6, v19, v9
	ds_write_b64 v44, v[2:3] offset:2448
	ds_write_b64 v4, v[5:6] offset:11424
	ds_read_b64 v[2:3], v44 offset:3264
	ds_read_b64 v[5:6], v4 offset:10608
	s_waitcnt lgkmcnt(0)
	v_add_f32_e32 v9, v2, v5
	v_add_f32_e32 v10, v6, v3
	v_sub_f32_e32 v13, v2, v5
	v_sub_f32_e32 v2, v3, v6
	s_waitcnt vmcnt(3)
	v_fma_f32 v14, v13, v12, v9
	v_fma_f32 v3, v10, v12, v2
	v_fma_f32 v5, -v13, v12, v9
	v_fma_f32 v6, v10, v12, -v2
	v_fma_f32 v2, -v11, v10, v14
	v_fmac_f32_e32 v3, v13, v11
	v_fmac_f32_e32 v5, v11, v10
	v_fmac_f32_e32 v6, v13, v11
	ds_write_b64 v44, v[2:3] offset:3264
	ds_write_b64 v4, v[5:6] offset:10608
	ds_read_b64 v[2:3], v44 offset:4080
	ds_read_b64 v[5:6], v4 offset:9792
	s_waitcnt lgkmcnt(0)
	v_add_f32_e32 v9, v2, v5
	v_add_f32_e32 v10, v6, v3
	v_sub_f32_e32 v11, v2, v5
	v_sub_f32_e32 v2, v3, v6
	s_waitcnt vmcnt(2)
	v_fma_f32 v12, v11, v16, v9
	v_fma_f32 v3, v10, v16, v2
	v_fma_f32 v5, -v11, v16, v9
	v_fma_f32 v6, v10, v16, -v2
	v_fma_f32 v2, -v15, v10, v12
	v_fmac_f32_e32 v3, v11, v15
	v_fmac_f32_e32 v5, v15, v10
	v_fmac_f32_e32 v6, v11, v15
	ds_write_b64 v44, v[2:3] offset:4080
	ds_write_b64 v4, v[5:6] offset:9792
	ds_read_b64 v[2:3], v44 offset:4896
	ds_read_b64 v[5:6], v4 offset:8976
	s_waitcnt lgkmcnt(0)
	v_add_f32_e32 v9, v2, v5
	v_add_f32_e32 v10, v6, v3
	v_sub_f32_e32 v11, v2, v5
	v_sub_f32_e32 v2, v3, v6
	s_waitcnt vmcnt(1)
	v_fma_f32 v12, v11, v18, v9
	v_fma_f32 v3, v10, v18, v2
	v_fma_f32 v5, -v11, v18, v9
	v_fma_f32 v6, v10, v18, -v2
	v_fma_f32 v2, -v17, v10, v12
	v_fmac_f32_e32 v3, v11, v17
	v_fmac_f32_e32 v5, v17, v10
	v_fmac_f32_e32 v6, v11, v17
	ds_write_b64 v44, v[2:3] offset:4896
	ds_write_b64 v4, v[5:6] offset:8976
	ds_read_b64 v[2:3], v44 offset:5712
	ds_read_b64 v[5:6], v4 offset:8160
	s_waitcnt lgkmcnt(0)
	v_add_f32_e32 v9, v2, v5
	v_add_f32_e32 v10, v6, v3
	v_sub_f32_e32 v11, v2, v5
	v_sub_f32_e32 v2, v3, v6
	s_waitcnt vmcnt(0)
	v_fma_f32 v12, v11, v8, v9
	v_fma_f32 v3, v10, v8, v2
	v_fma_f32 v5, -v11, v8, v9
	v_fma_f32 v6, v10, v8, -v2
	v_fma_f32 v2, -v7, v10, v12
	v_fmac_f32_e32 v3, v11, v7
	v_fmac_f32_e32 v5, v7, v10
	;; [unrolled: 1-line block ×3, first 2 shown]
	ds_write_b64 v44, v[2:3] offset:5712
	ds_write_b64 v4, v[5:6] offset:8160
	s_and_saveexec_b64 s[2:3], vcc
	s_cbranch_execz .LBB0_21
; %bb.20:
	v_add_co_u32_e32 v0, vcc, 0x1000, v0
	v_addc_co_u32_e32 v1, vcc, 0, v1, vcc
	global_load_dwordx2 v[0:1], v[0:1], off offset:2432
	ds_read_b64 v[2:3], v44 offset:6528
	ds_read_b64 v[5:6], v4 offset:7344
	s_waitcnt lgkmcnt(0)
	v_add_f32_e32 v7, v2, v5
	v_add_f32_e32 v8, v6, v3
	v_sub_f32_e32 v9, v2, v5
	v_sub_f32_e32 v3, v3, v6
	s_waitcnt vmcnt(0)
	v_fma_f32 v10, v9, v1, v7
	v_fma_f32 v2, v8, v1, v3
	v_fma_f32 v5, -v9, v1, v7
	v_fma_f32 v6, v8, v1, -v3
	v_fma_f32 v1, -v0, v8, v10
	v_fmac_f32_e32 v2, v9, v0
	v_fmac_f32_e32 v5, v0, v8
	;; [unrolled: 1-line block ×3, first 2 shown]
	ds_write_b64 v44, v[1:2] offset:6528
	ds_write_b64 v4, v[5:6] offset:7344
.LBB0_21:
	s_or_b64 exec, exec, s[2:3]
	s_waitcnt lgkmcnt(0)
	s_barrier
	s_barrier
	ds_read2_b64 v[4:7], v44 offset1:102
	v_add_u32_e32 v30, 0x400, v44
	ds_read2_b64 v[38:41], v30 offset0:76 offset1:178
	v_add_u32_e32 v42, 0x800, v44
	ds_read2_b64 v[46:49], v42 offset0:152 offset1:254
	;; [unrolled: 2-line block ×3, first 2 shown]
	s_waitcnt lgkmcnt(3)
	v_add_f32_e32 v19, v5, v7
	v_add_u32_e32 v27, 0x1800, v44
	v_add_f32_e32 v18, v4, v6
	s_waitcnt lgkmcnt(2)
	v_add_f32_e32 v19, v19, v39
	ds_read2_b64 v[0:3], v27 offset0:48 offset1:150
	v_add_f32_e32 v18, v18, v38
	v_add_f32_e32 v19, v19, v41
	v_add_u32_e32 v23, 0x1c00, v44
	v_add_f32_e32 v18, v18, v40
	s_waitcnt lgkmcnt(2)
	v_add_f32_e32 v19, v19, v47
	ds_read2_b64 v[12:15], v23 offset0:124 offset1:226
	v_add_f32_e32 v18, v18, v46
	;; [unrolled: 7-line block ×3, first 2 shown]
	v_add_f32_e32 v19, v19, v11
	v_add_u32_e32 v21, 0x2800, v44
	v_add_f32_e32 v18, v18, v10
	s_waitcnt lgkmcnt(2)
	v_add_f32_e32 v19, v19, v1
	ds_read2_b64 v[54:57], v21 offset0:148 offset1:250
	ds_read_b64 v[16:17], v44 offset:13056
	v_add_f32_e32 v18, v18, v0
	v_add_f32_e32 v19, v19, v3
	v_add_f32_e32 v18, v18, v2
	s_waitcnt lgkmcnt(3)
	v_add_f32_e32 v19, v19, v13
	v_add_f32_e32 v18, v18, v12
	v_add_f32_e32 v19, v19, v15
	v_add_f32_e32 v18, v18, v14
	s_waitcnt lgkmcnt(2)
	v_add_f32_e32 v19, v19, v51
	;; [unrolled: 5-line block ×3, first 2 shown]
	v_add_f32_e32 v31, v56, v38
	v_sub_f32_e32 v32, v38, v56
	v_add_f32_e32 v33, v54, v40
	v_add_f32_e32 v38, v55, v41
	v_sub_f32_e32 v34, v40, v54
	v_sub_f32_e32 v45, v41, v55
	v_add_f32_e32 v40, v50, v48
	v_sub_f32_e32 v41, v48, v50
	v_add_f32_e32 v50, v15, v9
	;; [unrolled: 2-line block ×3, first 2 shown]
	v_sub_f32_e32 v11, v11, v13
	s_waitcnt lgkmcnt(0)
	v_sub_f32_e32 v13, v7, v17
	v_add_f32_e32 v18, v18, v54
	v_add_f32_e32 v19, v19, v57
	v_add_f32_e32 v35, v57, v39
	v_sub_f32_e32 v39, v39, v57
	v_add_f32_e32 v36, v52, v46
	v_add_f32_e32 v43, v53, v47
	v_sub_f32_e32 v37, v46, v52
	v_sub_f32_e32 v47, v47, v53
	v_add_f32_e32 v46, v51, v49
	v_sub_f32_e32 v48, v49, v51
	v_mul_f32_e32 v51, 0xbeb8f4ab, v13
	v_mul_f32_e32 v53, 0xbf2c7751, v13
	;; [unrolled: 1-line block ×8, first 2 shown]
	v_add_f32_e32 v18, v18, v56
	v_add_f32_e32 v49, v14, v8
	v_sub_f32_e32 v8, v8, v14
	v_add_f32_e32 v14, v12, v10
	v_sub_f32_e32 v10, v10, v12
	v_add_f32_e32 v12, v16, v6
	s_mov_b32 s9, 0x3f6eb680
	v_mov_b32_e32 v52, v51
	s_mov_b32 s7, 0x3f3d2fb0
	v_mov_b32_e32 v54, v53
	;; [unrolled: 2-line block ×8, first 2 shown]
	v_add_f32_e32 v7, v17, v7
	v_fmac_f32_e32 v52, 0x3f6eb680, v12
	v_fma_f32 v51, v12, s9, -v51
	v_fmac_f32_e32 v54, 0x3f3d2fb0, v12
	v_fma_f32 v53, v12, s7, -v53
	;; [unrolled: 2-line block ×8, first 2 shown]
	v_mul_f32_e32 v13, 0x3f6eb680, v7
	v_mul_f32_e32 v67, 0x3f3d2fb0, v7
	;; [unrolled: 1-line block ×8, first 2 shown]
	v_sub_f32_e32 v6, v6, v16
	v_mov_b32_e32 v66, v13
	v_mov_b32_e32 v68, v67
	;; [unrolled: 1-line block ×8, first 2 shown]
	v_fmac_f32_e32 v66, 0x3eb8f4ab, v6
	v_fmac_f32_e32 v13, 0xbeb8f4ab, v6
	;; [unrolled: 1-line block ×16, first 2 shown]
	v_add_f32_e32 v6, v4, v52
	v_add_f32_e32 v51, v4, v51
	;; [unrolled: 1-line block ×17, first 2 shown]
	v_mul_f32_e32 v16, 0xbf2c7751, v39
	v_add_f32_e32 v52, v5, v66
	v_add_f32_e32 v13, v5, v13
	;; [unrolled: 1-line block ×17, first 2 shown]
	v_mov_b32_e32 v17, v16
	v_fmac_f32_e32 v17, 0x3f3d2fb0, v31
	v_add_f32_e32 v6, v17, v6
	v_mul_f32_e32 v17, 0x3f3d2fb0, v35
	v_mov_b32_e32 v18, v17
	v_fmac_f32_e32 v17, 0xbf2c7751, v32
	v_add_f32_e32 v13, v17, v13
	v_mul_f32_e32 v17, 0xbf7ee86f, v39
	v_mov_b32_e32 v19, v17
	v_fma_f32 v17, v31, s2, -v17
	v_fma_f32 v16, v31, s7, -v16
	v_fmac_f32_e32 v19, 0x3dbcf732, v31
	v_add_f32_e32 v17, v17, v53
	v_mul_f32_e32 v53, 0xbf4c4adb, v39
	v_fmac_f32_e32 v18, 0x3f2c7751, v32
	v_add_f32_e32 v16, v16, v51
	v_add_f32_e32 v19, v19, v54
	v_mul_f32_e32 v51, 0x3dbcf732, v35
	v_mov_b32_e32 v54, v53
	v_add_f32_e32 v18, v18, v52
	v_mov_b32_e32 v52, v51
	v_fmac_f32_e32 v54, 0xbf1a4643, v31
	v_fmac_f32_e32 v52, 0x3f7ee86f, v32
	v_add_f32_e32 v54, v54, v56
	v_mul_f32_e32 v56, 0xbf1a4643, v35
	v_add_f32_e32 v52, v52, v66
	v_mov_b32_e32 v66, v56
	v_fma_f32 v53, v31, s8, -v53
	v_fmac_f32_e32 v56, 0xbf4c4adb, v32
	v_fmac_f32_e32 v51, 0xbf7ee86f, v32
	v_add_f32_e32 v53, v53, v55
	v_add_f32_e32 v55, v56, v69
	v_mul_f32_e32 v56, 0xbe3c28d5, v39
	v_add_f32_e32 v51, v51, v67
	v_mov_b32_e32 v67, v56
	v_fmac_f32_e32 v67, 0xbf7ba420, v31
	v_fmac_f32_e32 v66, 0x3f4c4adb, v32
	v_add_f32_e32 v58, v67, v58
	v_mul_f32_e32 v67, 0xbf7ba420, v35
	v_add_f32_e32 v66, v66, v68
	v_mov_b32_e32 v68, v67
	v_fma_f32 v56, v31, s15, -v56
	v_fmac_f32_e32 v67, 0xbe3c28d5, v32
	v_add_f32_e32 v56, v56, v57
	v_add_f32_e32 v57, v67, v71
	v_mul_f32_e32 v67, 0x3f06c442, v39
	v_mov_b32_e32 v69, v67
	v_fmac_f32_e32 v69, 0xbf59a7d5, v31
	v_fmac_f32_e32 v68, 0x3e3c28d5, v32
	v_add_f32_e32 v60, v69, v60
	v_mul_f32_e32 v69, 0xbf59a7d5, v35
	v_add_f32_e32 v68, v68, v70
	v_mov_b32_e32 v70, v69
	v_fma_f32 v67, v31, s14, -v67
	v_fmac_f32_e32 v69, 0x3f06c442, v32
	v_add_f32_e32 v59, v67, v59
	v_add_f32_e32 v67, v69, v73
	v_mul_f32_e32 v69, 0x3f763a35, v39
	;; [unrolled: 12-line block ×3, first 2 shown]
	v_mov_b32_e32 v73, v71
	v_fmac_f32_e32 v73, 0x3ee437d1, v31
	v_fmac_f32_e32 v72, 0xbf763a35, v32
	v_add_f32_e32 v64, v73, v64
	v_mul_f32_e32 v73, 0x3ee437d1, v35
	v_add_f32_e32 v72, v72, v74
	v_mov_b32_e32 v74, v73
	v_fma_f32 v71, v31, s6, -v71
	v_fmac_f32_e32 v73, 0x3f65296c, v32
	v_mul_f32_e32 v39, 0x3eb8f4ab, v39
	v_add_f32_e32 v63, v71, v63
	v_add_f32_e32 v71, v73, v77
	v_mov_b32_e32 v73, v39
	v_fmac_f32_e32 v73, 0x3f6eb680, v31
	v_mul_f32_e32 v35, 0x3f6eb680, v35
	v_fma_f32 v31, v31, s9, -v39
	v_add_f32_e32 v65, v73, v65
	v_mov_b32_e32 v73, v35
	v_add_f32_e32 v12, v31, v12
	v_mul_f32_e32 v31, 0xbf65296c, v45
	v_fmac_f32_e32 v74, 0xbf65296c, v32
	v_fmac_f32_e32 v73, 0xbeb8f4ab, v32
	;; [unrolled: 1-line block ×3, first 2 shown]
	v_mov_b32_e32 v32, v31
	v_fmac_f32_e32 v32, 0x3ee437d1, v33
	v_add_f32_e32 v6, v32, v6
	v_mul_f32_e32 v32, 0x3ee437d1, v38
	v_fma_f32 v31, v33, s6, -v31
	v_add_f32_e32 v7, v35, v7
	v_mov_b32_e32 v35, v32
	v_add_f32_e32 v16, v31, v16
	v_fmac_f32_e32 v32, 0xbf65296c, v34
	v_mul_f32_e32 v31, 0xbf4c4adb, v45
	v_add_f32_e32 v13, v32, v13
	v_mov_b32_e32 v32, v31
	v_fmac_f32_e32 v32, 0xbf1a4643, v33
	v_fmac_f32_e32 v35, 0x3f65296c, v34
	v_add_f32_e32 v19, v32, v19
	v_mul_f32_e32 v32, 0xbf1a4643, v38
	v_add_f32_e32 v18, v35, v18
	v_mov_b32_e32 v35, v32
	v_fma_f32 v31, v33, s8, -v31
	v_fmac_f32_e32 v32, 0xbf4c4adb, v34
	v_add_f32_e32 v17, v31, v17
	v_add_f32_e32 v31, v32, v51
	v_mul_f32_e32 v32, 0x3e3c28d5, v45
	v_mov_b32_e32 v39, v32
	v_fma_f32 v32, v33, s15, -v32
	v_fmac_f32_e32 v35, 0x3f4c4adb, v34
	v_fmac_f32_e32 v39, 0xbf7ba420, v33
	v_mul_f32_e32 v51, 0xbf7ba420, v38
	v_add_f32_e32 v32, v32, v53
	v_mul_f32_e32 v53, 0x3f763a35, v45
	v_add_f32_e32 v35, v35, v52
	v_add_f32_e32 v39, v39, v54
	v_mov_b32_e32 v52, v51
	v_fmac_f32_e32 v51, 0x3e3c28d5, v34
	v_mov_b32_e32 v54, v53
	v_add_f32_e32 v51, v51, v55
	v_fmac_f32_e32 v54, 0xbe8c1d8e, v33
	v_mul_f32_e32 v55, 0xbe8c1d8e, v38
	v_fma_f32 v53, v33, s3, -v53
	v_add_f32_e32 v54, v54, v58
	v_mov_b32_e32 v58, v55
	v_add_f32_e32 v53, v53, v56
	v_fmac_f32_e32 v55, 0x3f763a35, v34
	v_mul_f32_e32 v56, 0x3f2c7751, v45
	v_add_f32_e32 v55, v55, v57
	v_mov_b32_e32 v57, v56
	v_fmac_f32_e32 v57, 0x3f3d2fb0, v33
	v_fmac_f32_e32 v52, 0xbe3c28d5, v34
	v_add_f32_e32 v57, v57, v60
	v_mul_f32_e32 v60, 0x3f3d2fb0, v38
	v_add_f32_e32 v52, v52, v66
	v_mov_b32_e32 v66, v60
	v_fma_f32 v56, v33, s7, -v56
	v_fmac_f32_e32 v60, 0x3f2c7751, v34
	v_add_f32_e32 v56, v56, v59
	v_add_f32_e32 v59, v60, v67
	v_mul_f32_e32 v60, 0xbeb8f4ab, v45
	v_mov_b32_e32 v67, v60
	v_fmac_f32_e32 v67, 0x3f6eb680, v33
	v_fmac_f32_e32 v58, 0xbf763a35, v34
	v_add_f32_e32 v62, v67, v62
	v_mul_f32_e32 v67, 0x3f6eb680, v38
	v_add_f32_e32 v58, v58, v68
	v_mov_b32_e32 v68, v67
	v_fma_f32 v60, v33, s9, -v60
	v_fmac_f32_e32 v67, 0xbeb8f4ab, v34
	v_add_f32_e32 v60, v60, v61
	v_add_f32_e32 v61, v67, v69
	v_mul_f32_e32 v67, 0xbf7ee86f, v45
	v_mov_b32_e32 v69, v67
	v_fmac_f32_e32 v69, 0x3dbcf732, v33
	v_fmac_f32_e32 v66, 0xbf2c7751, v34
	v_add_f32_e32 v64, v69, v64
	v_mul_f32_e32 v69, 0x3dbcf732, v38
	v_add_f32_e32 v66, v66, v70
	v_mov_b32_e32 v70, v69
	v_fma_f32 v67, v33, s2, -v67
	v_fmac_f32_e32 v69, 0xbf7ee86f, v34
	v_mul_f32_e32 v45, 0xbf06c442, v45
	v_add_f32_e32 v63, v67, v63
	v_add_f32_e32 v67, v69, v71
	v_mov_b32_e32 v69, v45
	v_fmac_f32_e32 v69, 0xbf59a7d5, v33
	v_mul_f32_e32 v38, 0xbf59a7d5, v38
	v_fma_f32 v33, v33, s14, -v45
	v_add_f32_e32 v65, v69, v65
	v_mov_b32_e32 v69, v38
	v_add_f32_e32 v12, v33, v12
	v_mul_f32_e32 v33, 0xbf7ee86f, v47
	v_fmac_f32_e32 v68, 0x3eb8f4ab, v34
	v_fmac_f32_e32 v70, 0x3f7ee86f, v34
	;; [unrolled: 1-line block ×4, first 2 shown]
	v_mov_b32_e32 v34, v33
	v_fmac_f32_e32 v34, 0x3dbcf732, v36
	v_add_f32_e32 v6, v34, v6
	v_mul_f32_e32 v34, 0x3dbcf732, v43
	v_fma_f32 v33, v36, s2, -v33
	v_add_f32_e32 v7, v38, v7
	v_mov_b32_e32 v38, v34
	v_add_f32_e32 v16, v33, v16
	v_fmac_f32_e32 v34, 0xbf7ee86f, v37
	v_mul_f32_e32 v33, 0xbe3c28d5, v47
	v_add_f32_e32 v13, v34, v13
	v_mov_b32_e32 v34, v33
	v_fmac_f32_e32 v34, 0xbf7ba420, v36
	v_fmac_f32_e32 v38, 0x3f7ee86f, v37
	v_add_f32_e32 v19, v34, v19
	v_mul_f32_e32 v34, 0xbf7ba420, v43
	v_fma_f32 v33, v36, s15, -v33
	v_add_f32_e32 v18, v38, v18
	v_mov_b32_e32 v38, v34
	v_add_f32_e32 v17, v33, v17
	v_fmac_f32_e32 v34, 0xbe3c28d5, v37
	v_mul_f32_e32 v33, 0x3f763a35, v47
	v_fmac_f32_e32 v38, 0x3e3c28d5, v37
	v_add_f32_e32 v31, v34, v31
	v_mov_b32_e32 v34, v33
	v_add_f32_e32 v35, v38, v35
	v_fmac_f32_e32 v34, 0xbe8c1d8e, v36
	v_mul_f32_e32 v38, 0xbe8c1d8e, v43
	v_add_f32_e32 v34, v34, v39
	v_mov_b32_e32 v39, v38
	v_fma_f32 v33, v36, s3, -v33
	v_fmac_f32_e32 v38, 0x3f763a35, v37
	v_add_f32_e32 v32, v33, v32
	v_add_f32_e32 v33, v38, v51
	v_mul_f32_e32 v38, 0x3eb8f4ab, v47
	v_mov_b32_e32 v45, v38
	v_fma_f32 v38, v36, s9, -v38
	v_fmac_f32_e32 v39, 0xbf763a35, v37
	v_fmac_f32_e32 v45, 0x3f6eb680, v36
	v_mul_f32_e32 v51, 0x3f6eb680, v43
	v_add_f32_e32 v38, v38, v53
	v_mul_f32_e32 v53, 0xbf65296c, v47
	v_add_f32_e32 v39, v39, v52
	v_add_f32_e32 v45, v45, v54
	v_mov_b32_e32 v52, v51
	v_fmac_f32_e32 v51, 0x3eb8f4ab, v37
	v_mov_b32_e32 v54, v53
	v_fma_f32 v53, v36, s6, -v53
	v_fmac_f32_e32 v52, 0xbeb8f4ab, v37
	v_add_f32_e32 v51, v51, v55
	v_fmac_f32_e32 v54, 0x3ee437d1, v36
	v_mul_f32_e32 v55, 0x3ee437d1, v43
	v_add_f32_e32 v53, v53, v56
	v_mul_f32_e32 v56, 0xbf06c442, v47
	v_add_f32_e32 v52, v52, v58
	v_add_f32_e32 v54, v54, v57
	v_mov_b32_e32 v57, v55
	v_fmac_f32_e32 v55, 0xbf65296c, v37
	v_mov_b32_e32 v58, v56
	v_add_f32_e32 v55, v55, v59
	v_fmac_f32_e32 v58, 0xbf59a7d5, v36
	v_mul_f32_e32 v59, 0xbf59a7d5, v43
	v_fma_f32 v56, v36, s14, -v56
	v_add_f32_e32 v58, v58, v62
	v_mov_b32_e32 v62, v59
	v_add_f32_e32 v56, v56, v60
	v_fmac_f32_e32 v59, 0xbf06c442, v37
	v_mul_f32_e32 v60, 0x3f4c4adb, v47
	v_add_f32_e32 v59, v59, v61
	v_mov_b32_e32 v61, v60
	v_fmac_f32_e32 v61, 0xbf1a4643, v36
	v_fmac_f32_e32 v57, 0x3f65296c, v37
	v_add_f32_e32 v61, v61, v64
	v_mul_f32_e32 v64, 0xbf1a4643, v43
	v_add_f32_e32 v57, v57, v66
	v_mov_b32_e32 v66, v64
	v_fma_f32 v60, v36, s8, -v60
	v_fmac_f32_e32 v64, 0x3f4c4adb, v37
	v_mul_f32_e32 v47, 0x3f2c7751, v47
	v_add_f32_e32 v60, v60, v63
	v_add_f32_e32 v63, v64, v67
	v_mov_b32_e32 v64, v47
	v_fmac_f32_e32 v64, 0x3f3d2fb0, v36
	v_mul_f32_e32 v43, 0x3f3d2fb0, v43
	v_fma_f32 v36, v36, s7, -v47
	v_add_f32_e32 v64, v64, v65
	v_mov_b32_e32 v65, v43
	v_add_f32_e32 v12, v36, v12
	v_mul_f32_e32 v36, 0xbf763a35, v48
	v_fmac_f32_e32 v62, 0x3f06c442, v37
	v_fmac_f32_e32 v66, 0xbf4c4adb, v37
	;; [unrolled: 1-line block ×4, first 2 shown]
	v_mov_b32_e32 v37, v36
	v_fmac_f32_e32 v37, 0xbe8c1d8e, v40
	v_add_f32_e32 v6, v37, v6
	v_mul_f32_e32 v37, 0xbe8c1d8e, v46
	v_fma_f32 v36, v40, s3, -v36
	v_add_f32_e32 v7, v43, v7
	v_mov_b32_e32 v43, v37
	v_add_f32_e32 v16, v36, v16
	v_fmac_f32_e32 v37, 0xbf763a35, v41
	v_mul_f32_e32 v36, 0x3f06c442, v48
	v_add_f32_e32 v13, v37, v13
	v_mov_b32_e32 v37, v36
	v_fmac_f32_e32 v37, 0xbf59a7d5, v40
	v_fmac_f32_e32 v43, 0x3f763a35, v41
	v_add_f32_e32 v19, v37, v19
	v_mul_f32_e32 v37, 0xbf59a7d5, v46
	v_fma_f32 v36, v40, s14, -v36
	v_add_f32_e32 v18, v43, v18
	v_mov_b32_e32 v43, v37
	v_add_f32_e32 v17, v36, v17
	v_fmac_f32_e32 v37, 0x3f06c442, v41
	v_mul_f32_e32 v36, 0x3f2c7751, v48
	v_add_f32_e32 v31, v37, v31
	v_mov_b32_e32 v37, v36
	v_fmac_f32_e32 v37, 0x3f3d2fb0, v40
	v_fmac_f32_e32 v43, 0xbf06c442, v41
	v_add_f32_e32 v34, v37, v34
	v_mul_f32_e32 v37, 0x3f3d2fb0, v46
	v_fma_f32 v36, v40, s7, -v36
	v_add_f32_e32 v35, v43, v35
	v_mov_b32_e32 v43, v37
	v_add_f32_e32 v32, v36, v32
	v_fmac_f32_e32 v37, 0x3f2c7751, v41
	v_mul_f32_e32 v36, 0xbf65296c, v48
	v_fmac_f32_e32 v43, 0xbf2c7751, v41
	v_add_f32_e32 v33, v37, v33
	v_mov_b32_e32 v37, v36
	v_add_f32_e32 v39, v43, v39
	v_fmac_f32_e32 v37, 0x3ee437d1, v40
	v_mul_f32_e32 v43, 0x3ee437d1, v46
	v_add_f32_e32 v37, v37, v45
	v_mov_b32_e32 v45, v43
	v_fma_f32 v36, v40, s6, -v36
	v_fmac_f32_e32 v43, 0xbf65296c, v41
	v_add_f32_e32 v36, v36, v38
	v_add_f32_e32 v38, v43, v51
	v_mul_f32_e32 v43, 0xbe3c28d5, v48
	v_mov_b32_e32 v47, v43
	v_fma_f32 v43, v40, s15, -v43
	v_fmac_f32_e32 v47, 0xbf7ba420, v40
	v_add_f32_e32 v43, v43, v53
	v_mul_f32_e32 v53, 0x3f7ee86f, v48
	v_fmac_f32_e32 v45, 0x3f65296c, v41
	v_add_f32_e32 v47, v47, v54
	v_mul_f32_e32 v51, 0xbf7ba420, v46
	v_mov_b32_e32 v54, v53
	v_fma_f32 v53, v40, s2, -v53
	v_add_f32_e32 v45, v45, v52
	v_mov_b32_e32 v52, v51
	v_fmac_f32_e32 v51, 0xbe3c28d5, v41
	v_fmac_f32_e32 v54, 0x3dbcf732, v40
	v_add_f32_e32 v53, v53, v56
	v_mul_f32_e32 v56, 0xbeb8f4ab, v48
	v_fmac_f32_e32 v52, 0x3e3c28d5, v41
	v_add_f32_e32 v51, v51, v55
	v_add_f32_e32 v54, v54, v58
	v_mul_f32_e32 v55, 0x3dbcf732, v46
	v_mov_b32_e32 v58, v56
	v_fma_f32 v56, v40, s9, -v56
	v_mul_f32_e32 v48, 0xbf4c4adb, v48
	v_add_f32_e32 v68, v68, v72
	v_add_f32_e32 v52, v52, v57
	v_mov_b32_e32 v57, v55
	v_fmac_f32_e32 v55, 0x3f7ee86f, v41
	v_add_f32_e32 v56, v56, v60
	v_mov_b32_e32 v60, v48
	v_add_f32_e32 v62, v62, v68
	v_fmac_f32_e32 v57, 0xbf7ee86f, v41
	v_add_f32_e32 v55, v55, v59
	v_fmac_f32_e32 v58, 0x3f6eb680, v40
	v_mul_f32_e32 v59, 0x3f6eb680, v46
	v_fmac_f32_e32 v60, 0xbf1a4643, v40
	v_mul_f32_e32 v46, 0xbf1a4643, v46
	v_fma_f32 v40, v40, s8, -v48
	v_add_f32_e32 v57, v57, v62
	v_add_f32_e32 v58, v58, v61
	v_mov_b32_e32 v61, v59
	v_mov_b32_e32 v62, v46
	v_add_f32_e32 v12, v40, v12
	v_mul_f32_e32 v40, 0xbf4c4adb, v9
	v_fmac_f32_e32 v61, 0x3eb8f4ab, v41
	v_fmac_f32_e32 v59, 0xbeb8f4ab, v41
	;; [unrolled: 1-line block ×4, first 2 shown]
	v_mov_b32_e32 v41, v40
	v_fmac_f32_e32 v41, 0xbf1a4643, v49
	v_add_f32_e32 v6, v41, v6
	v_mul_f32_e32 v41, 0xbf1a4643, v50
	v_fma_f32 v40, v49, s8, -v40
	v_add_f32_e32 v7, v46, v7
	v_mov_b32_e32 v46, v41
	v_add_f32_e32 v16, v40, v16
	v_fmac_f32_e32 v41, 0xbf4c4adb, v8
	v_mul_f32_e32 v40, 0x3f763a35, v9
	v_add_f32_e32 v13, v41, v13
	v_mov_b32_e32 v41, v40
	v_fmac_f32_e32 v41, 0xbe8c1d8e, v49
	v_fmac_f32_e32 v46, 0x3f4c4adb, v8
	v_add_f32_e32 v19, v41, v19
	v_mul_f32_e32 v41, 0xbe8c1d8e, v50
	v_fma_f32 v40, v49, s3, -v40
	v_add_f32_e32 v18, v46, v18
	v_mov_b32_e32 v46, v41
	v_add_f32_e32 v17, v40, v17
	v_fmac_f32_e32 v41, 0x3f763a35, v8
	v_mul_f32_e32 v40, 0xbeb8f4ab, v9
	v_add_f32_e32 v31, v41, v31
	v_mov_b32_e32 v41, v40
	v_fmac_f32_e32 v41, 0x3f6eb680, v49
	;; [unrolled: 12-line block ×3, first 2 shown]
	v_fmac_f32_e32 v46, 0x3eb8f4ab, v8
	v_add_f32_e32 v37, v41, v37
	v_mul_f32_e32 v41, 0xbf59a7d5, v50
	v_fma_f32 v40, v49, s14, -v40
	v_add_f32_e32 v39, v46, v39
	v_mov_b32_e32 v46, v41
	v_add_f32_e32 v36, v40, v36
	v_fmac_f32_e32 v41, 0xbf06c442, v8
	v_mul_f32_e32 v40, 0x3f7ee86f, v9
	v_fmac_f32_e32 v46, 0x3f06c442, v8
	v_add_f32_e32 v38, v41, v38
	v_mov_b32_e32 v41, v40
	v_add_f32_e32 v45, v46, v45
	v_fmac_f32_e32 v41, 0x3dbcf732, v49
	v_mul_f32_e32 v46, 0x3dbcf732, v50
	v_add_f32_e32 v41, v41, v47
	v_mov_b32_e32 v47, v46
	v_fma_f32 v40, v49, s2, -v40
	v_fmac_f32_e32 v46, 0x3f7ee86f, v8
	v_add_f32_e32 v40, v40, v43
	v_add_f32_e32 v43, v46, v51
	v_mul_f32_e32 v46, 0xbf2c7751, v9
	v_mov_b32_e32 v48, v46
	v_fma_f32 v46, v49, s7, -v46
	v_fmac_f32_e32 v47, 0xbf7ee86f, v8
	v_fmac_f32_e32 v48, 0x3f3d2fb0, v49
	v_mul_f32_e32 v51, 0x3f3d2fb0, v50
	v_add_f32_e32 v46, v46, v53
	v_mul_f32_e32 v53, 0xbe3c28d5, v9
	v_add_f32_e32 v47, v47, v52
	v_add_f32_e32 v48, v48, v54
	v_mov_b32_e32 v52, v51
	v_fmac_f32_e32 v51, 0xbf2c7751, v8
	v_mov_b32_e32 v54, v53
	v_fmac_f32_e32 v52, 0x3f2c7751, v8
	v_add_f32_e32 v51, v51, v55
	v_fmac_f32_e32 v54, 0xbf7ba420, v49
	v_mul_f32_e32 v55, 0xbf7ba420, v50
	v_mul_f32_e32 v50, 0x3ee437d1, v50
	v_add_f32_e32 v52, v52, v57
	v_add_f32_e32 v54, v54, v58
	v_mov_b32_e32 v57, v55
	v_fma_f32 v53, v49, s15, -v53
	v_mul_f32_e32 v9, 0x3f65296c, v9
	v_mov_b32_e32 v58, v50
	v_fmac_f32_e32 v57, 0x3e3c28d5, v8
	v_add_f32_e32 v53, v53, v56
	v_fmac_f32_e32 v55, 0xbe3c28d5, v8
	v_mov_b32_e32 v56, v9
	v_fmac_f32_e32 v58, 0xbf65296c, v8
	v_fma_f32 v9, v49, s6, -v9
	v_fmac_f32_e32 v50, 0x3f65296c, v8
	v_mul_f32_e32 v8, 0xbf06c442, v11
	v_add_f32_e32 v9, v9, v12
	v_mov_b32_e32 v12, v8
	v_fmac_f32_e32 v12, 0xbf59a7d5, v14
	v_add_f32_e32 v6, v12, v6
	v_mul_f32_e32 v12, 0xbf59a7d5, v15
	v_fmac_f32_e32 v56, 0x3ee437d1, v49
	v_mov_b32_e32 v49, v12
	v_fmac_f32_e32 v12, 0xbf06c442, v10
	v_fma_f32 v8, v14, s14, -v8
	v_add_f32_e32 v12, v12, v13
	v_mul_f32_e32 v13, 0x3f65296c, v11
	v_add_f32_e32 v8, v8, v16
	v_mov_b32_e32 v16, v13
	v_fmac_f32_e32 v16, 0x3ee437d1, v14
	v_fmac_f32_e32 v49, 0x3f06c442, v10
	v_add_f32_e32 v16, v16, v19
	v_mul_f32_e32 v19, 0x3ee437d1, v15
	v_add_f32_e32 v18, v49, v18
	v_mov_b32_e32 v49, v19
	v_fma_f32 v13, v14, s6, -v13
	v_fmac_f32_e32 v19, 0x3f65296c, v10
	v_add_f32_e32 v13, v13, v17
	v_add_f32_e32 v17, v19, v31
	v_mul_f32_e32 v19, 0xbf7ee86f, v11
	v_mov_b32_e32 v31, v19
	v_fmac_f32_e32 v31, 0x3dbcf732, v14
	v_fmac_f32_e32 v49, 0xbf65296c, v10
	v_add_f32_e32 v31, v31, v34
	v_mul_f32_e32 v34, 0x3dbcf732, v15
	v_add_f32_e32 v35, v49, v35
	v_mov_b32_e32 v49, v34
	v_fma_f32 v19, v14, s2, -v19
	v_fmac_f32_e32 v49, 0x3f7ee86f, v10
	v_add_f32_e32 v19, v19, v32
	v_fmac_f32_e32 v34, 0xbf7ee86f, v10
	v_mul_f32_e32 v32, 0x3f4c4adb, v11
	v_add_f32_e32 v39, v49, v39
	v_add_f32_e32 v49, v34, v33
	v_mov_b32_e32 v33, v32
	v_fmac_f32_e32 v33, 0xbf1a4643, v14
	v_add_f32_e32 v59, v59, v63
	v_add_f32_e32 v7, v50, v7
	;; [unrolled: 1-line block ×3, first 2 shown]
	v_mul_f32_e32 v33, 0xbf1a4643, v15
	v_fma_f32 v32, v14, s8, -v32
	v_add_f32_e32 v74, v74, v76
	v_add_f32_e32 v60, v60, v64
	;; [unrolled: 1-line block ×3, first 2 shown]
	v_mov_b32_e32 v34, v33
	v_add_f32_e32 v59, v32, v36
	v_fmac_f32_e32 v33, 0x3f4c4adb, v10
	v_mul_f32_e32 v32, 0xbeb8f4ab, v11
	v_add_f32_e32 v70, v70, v74
	v_add_f32_e32 v56, v56, v60
	;; [unrolled: 1-line block ×3, first 2 shown]
	v_mov_b32_e32 v33, v32
	v_add_f32_e32 v66, v66, v70
	v_fmac_f32_e32 v33, 0x3f6eb680, v14
	v_add_f32_e32 v61, v61, v66
	v_fmac_f32_e32 v34, 0xbf4c4adb, v10
	v_add_f32_e32 v41, v33, v41
	v_mul_f32_e32 v33, 0x3f6eb680, v15
	v_fma_f32 v32, v14, s9, -v32
	v_add_f32_e32 v73, v73, v78
	v_add_f32_e32 v57, v57, v61
	;; [unrolled: 1-line block ×3, first 2 shown]
	v_mov_b32_e32 v34, v33
	v_add_f32_e32 v61, v32, v40
	v_fmac_f32_e32 v33, 0xbeb8f4ab, v10
	v_mul_f32_e32 v32, 0xbe3c28d5, v11
	v_add_f32_e32 v69, v69, v73
	v_add_f32_e32 v43, v33, v43
	v_mov_b32_e32 v33, v32
	v_add_f32_e32 v65, v65, v69
	v_fmac_f32_e32 v33, 0xbf7ba420, v14
	v_add_f32_e32 v62, v62, v65
	v_fmac_f32_e32 v34, 0x3eb8f4ab, v10
	v_add_f32_e32 v48, v33, v48
	v_mul_f32_e32 v33, 0xbf7ba420, v15
	v_fma_f32 v32, v14, s15, -v32
	v_add_f32_e32 v58, v58, v62
	v_add_f32_e32 v47, v34, v47
	v_mov_b32_e32 v34, v33
	v_add_f32_e32 v62, v32, v46
	v_fmac_f32_e32 v33, 0xbe3c28d5, v10
	v_mul_f32_e32 v32, 0x3f2c7751, v11
	v_add_f32_e32 v51, v33, v51
	v_mov_b32_e32 v33, v32
	v_fma_f32 v32, v14, s7, -v32
	v_mul_f32_e32 v11, 0xbf763a35, v11
	v_fmac_f32_e32 v33, 0x3f3d2fb0, v14
	v_add_f32_e32 v53, v32, v53
	v_mov_b32_e32 v32, v11
	v_sub_f32_e32 v68, v1, v3
	v_add_f32_e32 v54, v33, v54
	v_mul_f32_e32 v33, 0x3f3d2fb0, v15
	v_fmac_f32_e32 v32, 0xbe8c1d8e, v14
	v_mul_f32_e32 v15, 0xbe8c1d8e, v15
	v_add_f32_e32 v65, v2, v0
	v_sub_f32_e32 v67, v0, v2
	v_mul_f32_e32 v0, 0xbe3c28d5, v68
	v_add_f32_e32 v56, v32, v56
	v_mov_b32_e32 v32, v15
	v_add_f32_e32 v66, v3, v1
	v_mov_b32_e32 v1, v0
	v_fmac_f32_e32 v32, 0x3f763a35, v10
	v_fmac_f32_e32 v1, 0xbf7ba420, v65
	v_add_f32_e32 v58, v32, v58
	v_add_f32_e32 v32, v1, v6
	v_mul_f32_e32 v1, 0xbf7ba420, v66
	v_fmac_f32_e32 v34, 0x3e3c28d5, v10
	v_mov_b32_e32 v2, v1
	v_add_f32_e32 v52, v34, v52
	v_mov_b32_e32 v34, v33
	v_fmac_f32_e32 v33, 0x3f2c7751, v10
	v_fmac_f32_e32 v2, 0x3e3c28d5, v67
	v_add_f32_e32 v55, v33, v55
	v_add_f32_e32 v33, v2, v18
	v_mul_f32_e32 v2, 0x3eb8f4ab, v68
	v_mov_b32_e32 v3, v2
	v_fmac_f32_e32 v34, 0xbf2c7751, v10
	v_fmac_f32_e32 v3, 0x3f6eb680, v65
	v_add_f32_e32 v57, v34, v57
	v_add_f32_e32 v34, v3, v16
	v_mul_f32_e32 v3, 0x3f6eb680, v66
	v_mov_b32_e32 v6, v3
	v_fmac_f32_e32 v6, 0xbeb8f4ab, v67
	v_fmac_f32_e32 v15, 0xbf763a35, v10
	v_add_f32_e32 v35, v6, v35
	v_mul_f32_e32 v6, 0xbf06c442, v68
	v_add_f32_e32 v64, v15, v7
	v_mov_b32_e32 v7, v6
	v_fmac_f32_e32 v7, 0xbf59a7d5, v65
	v_fma_f32 v0, v65, s15, -v0
	v_add_f32_e32 v36, v7, v31
	v_mul_f32_e32 v7, 0xbf59a7d5, v66
	v_add_f32_e32 v0, v0, v8
	v_mov_b32_e32 v8, v7
	v_fmac_f32_e32 v8, 0x3f06c442, v67
	v_fma_f32 v11, v14, s3, -v11
	v_add_f32_e32 v37, v8, v39
	v_mul_f32_e32 v8, 0x3f2c7751, v68
	v_add_f32_e32 v63, v11, v9
	v_mov_b32_e32 v9, v8
	v_fmac_f32_e32 v9, 0x3f3d2fb0, v65
	v_add_f32_e32 v38, v9, v50
	v_mul_f32_e32 v9, 0x3f3d2fb0, v66
	v_mov_b32_e32 v10, v9
	v_fmac_f32_e32 v10, 0xbf2c7751, v67
	v_add_f32_e32 v39, v10, v45
	v_mul_f32_e32 v10, 0xbf4c4adb, v68
	v_mov_b32_e32 v11, v10
	v_fmac_f32_e32 v11, 0xbf1a4643, v65
	v_fmac_f32_e32 v1, 0xbe3c28d5, v67
	v_add_f32_e32 v40, v11, v41
	v_mul_f32_e32 v11, 0xbf1a4643, v66
	v_add_f32_e32 v1, v1, v12
	v_mov_b32_e32 v12, v11
	v_fmac_f32_e32 v12, 0x3f4c4adb, v67
	v_fma_f32 v2, v65, s9, -v2
	v_add_f32_e32 v41, v12, v47
	v_mul_f32_e32 v12, 0x3f65296c, v68
	v_add_f32_e32 v2, v2, v13
	v_mov_b32_e32 v13, v12
	v_fmac_f32_e32 v13, 0x3ee437d1, v65
	v_add_f32_e32 v45, v13, v48
	v_mul_f32_e32 v13, 0x3ee437d1, v66
	v_mov_b32_e32 v14, v13
	v_fmac_f32_e32 v14, 0xbf65296c, v67
	v_add_f32_e32 v46, v14, v52
	v_mul_f32_e32 v14, 0xbf763a35, v68
	v_mov_b32_e32 v15, v14
	v_fmac_f32_e32 v15, 0xbe8c1d8e, v65
	v_add_f32_e32 v47, v15, v54
	v_mul_f32_e32 v15, 0xbe8c1d8e, v66
	v_fma_f32 v6, v65, s14, -v6
	v_mov_b32_e32 v16, v15
	v_fmac_f32_e32 v3, 0x3eb8f4ab, v67
	v_add_f32_e32 v6, v6, v19
	v_fmac_f32_e32 v16, 0x3f763a35, v67
	v_mul_f32_e32 v18, 0x3f7ee86f, v68
	v_mul_f32_e32 v19, 0x3dbcf732, v66
	v_add_f32_e32 v3, v3, v17
	v_add_f32_e32 v48, v16, v57
	v_mov_b32_e32 v16, v18
	v_mov_b32_e32 v17, v19
	s_movk_i32 s16, 0x88
	v_fmac_f32_e32 v7, 0xbf06c442, v67
	v_fma_f32 v8, v65, s7, -v8
	v_fmac_f32_e32 v9, 0x3f2c7751, v67
	v_fma_f32 v10, v65, s8, -v10
	;; [unrolled: 2-line block ×4, first 2 shown]
	v_fmac_f32_e32 v15, 0xbf763a35, v67
	v_fmac_f32_e32 v16, 0x3dbcf732, v65
	;; [unrolled: 1-line block ×3, first 2 shown]
	v_fma_f32 v18, v65, s2, -v18
	v_fmac_f32_e32 v19, 0x3f7ee86f, v67
	v_mad_u32_u24 v31, v26, s16, 0
	s_movk_i32 s16, 0xf1
	v_add_f32_e32 v7, v7, v49
	v_add_f32_e32 v8, v8, v59
	;; [unrolled: 1-line block ×13, first 2 shown]
	s_barrier
	ds_write2_b64 v31, v[4:5], v[32:33] offset1:1
	ds_write2_b64 v31, v[34:35], v[36:37] offset0:2 offset1:3
	ds_write2_b64 v31, v[38:39], v[40:41] offset0:4 offset1:5
	;; [unrolled: 1-line block ×7, first 2 shown]
	ds_write_b64 v31, v[0:1] offset:128
	v_mul_lo_u16_sdwa v0, v26, s16 dst_sel:DWORD dst_unused:UNUSED_PAD src0_sel:BYTE_0 src1_sel:DWORD
	v_lshrrev_b16_e32 v11, 12, v0
	v_mul_lo_u16_e32 v0, 17, v11
	v_sub_u16_e32 v10, v26, v0
	v_mov_b32_e32 v0, 7
	v_lshlrev_b32_sdwa v0, v0, v10 dst_sel:DWORD dst_unused:UNUSED_PAD src0_sel:DWORD src1_sel:BYTE_0
	s_waitcnt lgkmcnt(0)
	s_barrier
	global_load_dwordx4 v[4:7], v0, s[12:13]
	global_load_dwordx4 v[12:15], v0, s[12:13] offset:16
	global_load_dwordx4 v[37:40], v0, s[12:13] offset:32
	;; [unrolled: 1-line block ×7, first 2 shown]
	ds_read2_b64 v[0:3], v44 offset1:102
	ds_read2_b64 v[16:19], v30 offset0:76 offset1:178
	ds_read2_b64 v[65:68], v42 offset0:152 offset1:254
	;; [unrolled: 1-line block ×3, first 2 shown]
	v_mul_u32_u24_e32 v11, 0x908, v11
	s_waitcnt vmcnt(7) lgkmcnt(3)
	v_mul_f32_e32 v41, v5, v3
	v_fmac_f32_e32 v41, v4, v2
	v_mul_f32_e32 v2, v5, v2
	v_fma_f32 v43, v4, v3, -v2
	s_waitcnt lgkmcnt(2)
	v_mul_f32_e32 v2, v7, v16
	v_fma_f32 v36, v6, v17, -v2
	s_waitcnt vmcnt(6)
	v_mul_f32_e32 v2, v13, v18
	v_fma_f32 v33, v12, v19, -v2
	s_waitcnt lgkmcnt(1)
	v_mul_f32_e32 v2, v65, v15
	v_mul_f32_e32 v35, v7, v17
	;; [unrolled: 1-line block ×3, first 2 shown]
	v_fma_f32 v31, v66, v14, -v2
	s_waitcnt vmcnt(5)
	v_mul_f32_e32 v2, v67, v38
	v_fmac_f32_e32 v35, v6, v16
	v_fmac_f32_e32 v32, v12, v18
	v_mul_f32_e32 v16, v68, v38
	v_fma_f32 v17, v68, v37, -v2
	s_waitcnt lgkmcnt(0)
	v_mul_f32_e32 v12, v70, v40
	v_mul_f32_e32 v2, v69, v40
	v_fmac_f32_e32 v16, v67, v37
	v_fmac_f32_e32 v12, v69, v39
	v_fma_f32 v13, v70, v39, -v2
	ds_read2_b64 v[37:40], v23 offset0:124 offset1:226
	v_mul_f32_e32 v30, v66, v15
	v_fmac_f32_e32 v30, v65, v14
	ds_read2_b64 v[65:68], v27 offset0:48 offset1:150
	s_waitcnt vmcnt(4)
	v_mul_f32_e32 v2, v71, v46
	s_waitcnt vmcnt(3) lgkmcnt(1)
	v_mul_f32_e32 v8, v38, v52
	v_mul_f32_e32 v9, v37, v52
	s_waitcnt vmcnt(2)
	v_mul_f32_e32 v14, v40, v54
	v_mul_f32_e32 v15, v39, v54
	v_fmac_f32_e32 v8, v37, v51
	v_fma_f32 v9, v38, v51, -v9
	v_fmac_f32_e32 v14, v39, v53
	v_fma_f32 v15, v40, v53, -v15
	ds_read2_b64 v[37:40], v21 offset0:148 offset1:250
	v_mul_f32_e32 v6, v72, v46
	v_fma_f32 v7, v72, v45, -v2
	s_waitcnt lgkmcnt(1)
	v_mul_f32_e32 v2, v66, v48
	v_mul_f32_e32 v3, v65, v48
	v_fmac_f32_e32 v6, v71, v45
	v_fmac_f32_e32 v2, v65, v47
	v_fma_f32 v3, v66, v47, -v3
	ds_read2_b64 v[45:48], v22 offset0:72 offset1:174
	s_waitcnt vmcnt(1) lgkmcnt(1)
	v_mul_f32_e32 v23, v38, v60
	v_mul_f32_e32 v34, v37, v60
	v_fmac_f32_e32 v23, v37, v59
	v_fma_f32 v34, v38, v59, -v34
	ds_read_b64 v[37:38], v44 offset:13056
	s_waitcnt lgkmcnt(1)
	v_mul_f32_e32 v18, v46, v56
	v_fmac_f32_e32 v18, v45, v55
	v_mul_f32_e32 v19, v45, v56
	s_waitcnt vmcnt(0)
	v_mul_f32_e32 v45, v40, v62
	v_fmac_f32_e32 v45, v39, v61
	v_mul_f32_e32 v39, v39, v62
	v_fma_f32 v39, v40, v61, -v39
	s_waitcnt lgkmcnt(0)
	v_mul_f32_e32 v40, v38, v64
	v_fmac_f32_e32 v40, v37, v63
	v_mul_f32_e32 v37, v37, v64
	v_fma_f32 v37, v38, v63, -v37
	v_mul_f32_e32 v4, v68, v50
	v_mul_f32_e32 v5, v67, v50
	v_fma_f32 v19, v46, v55, -v19
	v_mul_f32_e32 v21, v48, v58
	v_mul_f32_e32 v22, v47, v58
	v_sub_f32_e32 v46, v43, v37
	v_fmac_f32_e32 v4, v67, v49
	v_fma_f32 v5, v68, v49, -v5
	v_fmac_f32_e32 v21, v47, v57
	v_fma_f32 v22, v48, v57, -v22
	v_mul_f32_e32 v47, 0xbeb8f4ab, v46
	v_mul_f32_e32 v49, 0xbf2c7751, v46
	;; [unrolled: 1-line block ×8, first 2 shown]
	v_add_f32_e32 v38, v41, v40
	v_mov_b32_e32 v48, v47
	v_mov_b32_e32 v50, v49
	;; [unrolled: 1-line block ×8, first 2 shown]
	v_fmac_f32_e32 v48, 0x3f6eb680, v38
	v_fma_f32 v47, v38, s9, -v47
	v_fmac_f32_e32 v50, 0x3f3d2fb0, v38
	v_fma_f32 v49, v38, s7, -v49
	;; [unrolled: 2-line block ×8, first 2 shown]
	v_add_f32_e32 v46, v43, v37
	v_mul_f32_e32 v63, 0x3f6eb680, v46
	v_mul_f32_e32 v65, 0x3f3d2fb0, v46
	;; [unrolled: 1-line block ×8, first 2 shown]
	v_sub_f32_e32 v62, v41, v40
	v_mov_b32_e32 v64, v63
	v_mov_b32_e32 v66, v65
	;; [unrolled: 1-line block ×8, first 2 shown]
	v_add_f32_e32 v41, v41, v0
	v_fmac_f32_e32 v64, 0x3eb8f4ab, v62
	v_fmac_f32_e32 v63, 0xbeb8f4ab, v62
	;; [unrolled: 1-line block ×16, first 2 shown]
	v_add_f32_e32 v43, v43, v1
	v_add_f32_e32 v48, v48, v0
	v_add_f32_e32 v47, v47, v0
	v_add_f32_e32 v50, v50, v0
	v_add_f32_e32 v49, v49, v0
	v_add_f32_e32 v52, v52, v0
	v_add_f32_e32 v51, v51, v0
	v_add_f32_e32 v54, v54, v0
	v_add_f32_e32 v53, v53, v0
	v_add_f32_e32 v56, v56, v0
	v_add_f32_e32 v55, v55, v0
	v_add_f32_e32 v58, v58, v0
	v_add_f32_e32 v57, v57, v0
	v_add_f32_e32 v60, v60, v0
	v_add_f32_e32 v59, v59, v0
	v_add_f32_e32 v61, v61, v0
	v_add_f32_e32 v38, v38, v0
	v_add_f32_e32 v0, v41, v35
	v_add_f32_e32 v62, v64, v1
	v_add_f32_e32 v63, v63, v1
	v_add_f32_e32 v64, v66, v1
	v_add_f32_e32 v65, v65, v1
	v_add_f32_e32 v66, v68, v1
	v_add_f32_e32 v67, v67, v1
	v_add_f32_e32 v68, v70, v1
	v_add_f32_e32 v69, v69, v1
	v_add_f32_e32 v70, v72, v1
	v_add_f32_e32 v71, v71, v1
	v_add_f32_e32 v72, v74, v1
	v_add_f32_e32 v73, v73, v1
	v_add_f32_e32 v74, v76, v1
	v_add_f32_e32 v75, v75, v1
	v_add_f32_e32 v76, v77, v1
	v_add_f32_e32 v46, v46, v1
	v_add_f32_e32 v1, v43, v36
	v_add_f32_e32 v0, v0, v32
	v_add_f32_e32 v1, v1, v33
	v_add_f32_e32 v0, v0, v30
	v_add_f32_e32 v1, v1, v31
	v_add_f32_e32 v0, v0, v16
	v_add_f32_e32 v1, v1, v17
	v_add_f32_e32 v0, v0, v12
	v_add_f32_e32 v1, v1, v13
	v_add_f32_e32 v0, v0, v6
	v_add_f32_e32 v1, v1, v7
	v_add_f32_e32 v0, v0, v2
	v_add_f32_e32 v1, v1, v3
	v_add_f32_e32 v0, v0, v4
	v_add_f32_e32 v1, v1, v5
	v_add_f32_e32 v0, v0, v8
	v_add_f32_e32 v1, v1, v9
	v_add_f32_e32 v0, v0, v14
	v_add_f32_e32 v1, v1, v15
	v_add_f32_e32 v0, v0, v18
	v_add_f32_e32 v1, v1, v19
	v_add_f32_e32 v0, v0, v21
	v_add_f32_e32 v1, v1, v22
	v_add_f32_e32 v0, v0, v23
	v_add_f32_e32 v1, v1, v34
	v_add_f32_e32 v0, v0, v45
	v_add_f32_e32 v1, v1, v39
	v_add_f32_e32 v0, v0, v40
	v_add_f32_e32 v40, v36, v39
	v_sub_f32_e32 v36, v36, v39
	v_add_f32_e32 v1, v1, v37
	v_add_f32_e32 v37, v35, v45
	v_mul_f32_e32 v39, 0xbf2c7751, v36
	v_mov_b32_e32 v41, v39
	v_fma_f32 v39, v37, s7, -v39
	v_fmac_f32_e32 v41, 0x3f3d2fb0, v37
	v_add_f32_e32 v39, v39, v47
	v_mul_f32_e32 v47, 0xbf7ee86f, v36
	v_add_f32_e32 v41, v41, v48
	v_mul_f32_e32 v43, 0x3f3d2fb0, v40
	v_mov_b32_e32 v48, v47
	v_sub_f32_e32 v35, v35, v45
	v_mov_b32_e32 v45, v43
	v_fmac_f32_e32 v48, 0x3dbcf732, v37
	v_fmac_f32_e32 v45, 0x3f2c7751, v35
	v_add_f32_e32 v48, v48, v50
	v_mul_f32_e32 v50, 0x3dbcf732, v40
	v_add_f32_e32 v45, v45, v62
	v_mov_b32_e32 v62, v50
	v_fma_f32 v47, v37, s2, -v47
	v_fmac_f32_e32 v50, 0xbf7ee86f, v35
	v_fmac_f32_e32 v43, 0xbf2c7751, v35
	v_add_f32_e32 v47, v47, v49
	v_add_f32_e32 v49, v50, v65
	v_mul_f32_e32 v50, 0xbf4c4adb, v36
	v_add_f32_e32 v43, v43, v63
	v_mov_b32_e32 v63, v50
	v_fmac_f32_e32 v63, 0xbf1a4643, v37
	v_fmac_f32_e32 v62, 0x3f7ee86f, v35
	v_add_f32_e32 v52, v63, v52
	v_mul_f32_e32 v63, 0xbf1a4643, v40
	v_add_f32_e32 v62, v62, v64
	v_mov_b32_e32 v64, v63
	v_fma_f32 v50, v37, s8, -v50
	v_fmac_f32_e32 v63, 0xbf4c4adb, v35
	v_add_f32_e32 v50, v50, v51
	v_add_f32_e32 v51, v63, v67
	v_mul_f32_e32 v63, 0xbe3c28d5, v36
	v_mov_b32_e32 v65, v63
	v_fmac_f32_e32 v65, 0xbf7ba420, v37
	v_fmac_f32_e32 v64, 0x3f4c4adb, v35
	v_add_f32_e32 v54, v65, v54
	v_mul_f32_e32 v65, 0xbf7ba420, v40
	v_add_f32_e32 v64, v64, v66
	v_mov_b32_e32 v66, v65
	v_fma_f32 v63, v37, s15, -v63
	v_fmac_f32_e32 v65, 0xbe3c28d5, v35
	v_add_f32_e32 v53, v63, v53
	v_add_f32_e32 v63, v65, v69
	v_mul_f32_e32 v65, 0x3f06c442, v36
	;; [unrolled: 12-line block ×4, first 2 shown]
	v_mov_b32_e32 v71, v69
	v_fmac_f32_e32 v71, 0x3ee437d1, v37
	v_fmac_f32_e32 v70, 0xbf763a35, v35
	v_add_f32_e32 v60, v71, v60
	v_mul_f32_e32 v71, 0x3ee437d1, v40
	v_add_f32_e32 v70, v70, v72
	v_mov_b32_e32 v72, v71
	v_fma_f32 v69, v37, s6, -v69
	v_fmac_f32_e32 v71, 0x3f65296c, v35
	v_mul_f32_e32 v36, 0x3eb8f4ab, v36
	v_add_f32_e32 v59, v69, v59
	v_add_f32_e32 v69, v71, v75
	v_mov_b32_e32 v71, v36
	v_fmac_f32_e32 v71, 0x3f6eb680, v37
	v_fma_f32 v36, v37, s9, -v36
	v_add_f32_e32 v37, v32, v23
	v_sub_f32_e32 v23, v32, v23
	v_add_f32_e32 v32, v33, v34
	v_sub_f32_e32 v33, v33, v34
	v_mul_f32_e32 v40, 0x3f6eb680, v40
	v_mul_f32_e32 v34, 0xbf65296c, v33
	v_add_f32_e32 v61, v71, v61
	v_mov_b32_e32 v71, v40
	v_add_f32_e32 v36, v36, v38
	v_fmac_f32_e32 v40, 0x3eb8f4ab, v35
	v_mov_b32_e32 v38, v34
	v_fmac_f32_e32 v72, 0xbf65296c, v35
	v_fmac_f32_e32 v71, 0xbeb8f4ab, v35
	v_add_f32_e32 v35, v40, v46
	v_fmac_f32_e32 v38, 0x3ee437d1, v37
	v_mul_f32_e32 v40, 0x3ee437d1, v32
	v_add_f32_e32 v38, v38, v41
	v_mov_b32_e32 v41, v40
	v_fma_f32 v34, v37, s6, -v34
	v_fmac_f32_e32 v40, 0xbf65296c, v23
	v_add_f32_e32 v34, v34, v39
	v_add_f32_e32 v39, v40, v43
	v_mul_f32_e32 v40, 0xbf4c4adb, v33
	v_fmac_f32_e32 v41, 0x3f65296c, v23
	v_mov_b32_e32 v43, v40
	v_fma_f32 v40, v37, s8, -v40
	v_add_f32_e32 v41, v41, v45
	v_fmac_f32_e32 v43, 0xbf1a4643, v37
	v_mul_f32_e32 v45, 0xbf1a4643, v32
	v_add_f32_e32 v40, v40, v47
	v_mul_f32_e32 v47, 0x3e3c28d5, v33
	v_add_f32_e32 v43, v43, v48
	v_mov_b32_e32 v46, v45
	v_fmac_f32_e32 v45, 0xbf4c4adb, v23
	v_mov_b32_e32 v48, v47
	v_add_f32_e32 v45, v45, v49
	v_fmac_f32_e32 v48, 0xbf7ba420, v37
	v_mul_f32_e32 v49, 0xbf7ba420, v32
	v_fma_f32 v47, v37, s15, -v47
	v_add_f32_e32 v48, v48, v52
	v_mov_b32_e32 v52, v49
	v_add_f32_e32 v47, v47, v50
	v_fmac_f32_e32 v49, 0x3e3c28d5, v23
	v_mul_f32_e32 v50, 0x3f763a35, v33
	v_add_f32_e32 v49, v49, v51
	v_mov_b32_e32 v51, v50
	v_fmac_f32_e32 v51, 0xbe8c1d8e, v37
	v_fmac_f32_e32 v46, 0x3f4c4adb, v23
	v_add_f32_e32 v51, v51, v54
	v_mul_f32_e32 v54, 0xbe8c1d8e, v32
	v_add_f32_e32 v46, v46, v62
	v_mov_b32_e32 v62, v54
	v_fma_f32 v50, v37, s3, -v50
	v_fmac_f32_e32 v54, 0x3f763a35, v23
	v_add_f32_e32 v50, v50, v53
	v_add_f32_e32 v53, v54, v63
	v_mul_f32_e32 v54, 0x3f2c7751, v33
	v_mov_b32_e32 v63, v54
	v_fmac_f32_e32 v63, 0x3f3d2fb0, v37
	v_fmac_f32_e32 v52, 0xbe3c28d5, v23
	v_add_f32_e32 v56, v63, v56
	v_mul_f32_e32 v63, 0x3f3d2fb0, v32
	v_add_f32_e32 v52, v52, v64
	v_mov_b32_e32 v64, v63
	v_fma_f32 v54, v37, s7, -v54
	v_fmac_f32_e32 v63, 0x3f2c7751, v23
	v_add_f32_e32 v54, v54, v55
	v_add_f32_e32 v55, v63, v65
	v_mul_f32_e32 v63, 0xbeb8f4ab, v33
	;; [unrolled: 12-line block ×3, first 2 shown]
	v_mov_b32_e32 v67, v65
	v_fmac_f32_e32 v67, 0x3dbcf732, v37
	v_fmac_f32_e32 v64, 0xbf2c7751, v23
	v_add_f32_e32 v60, v67, v60
	v_mul_f32_e32 v67, 0x3dbcf732, v32
	v_add_f32_e32 v64, v64, v68
	v_mov_b32_e32 v68, v67
	v_fma_f32 v65, v37, s2, -v65
	v_fmac_f32_e32 v67, 0xbf7ee86f, v23
	v_mul_f32_e32 v33, 0xbf06c442, v33
	v_add_f32_e32 v59, v65, v59
	v_add_f32_e32 v65, v67, v69
	v_mov_b32_e32 v67, v33
	v_fmac_f32_e32 v67, 0xbf59a7d5, v37
	v_mul_f32_e32 v32, 0xbf59a7d5, v32
	v_add_f32_e32 v61, v67, v61
	v_mov_b32_e32 v67, v32
	v_fmac_f32_e32 v32, 0xbf06c442, v23
	v_fmac_f32_e32 v66, 0x3eb8f4ab, v23
	;; [unrolled: 1-line block ×4, first 2 shown]
	v_fma_f32 v33, v37, s14, -v33
	v_add_f32_e32 v23, v32, v35
	v_add_f32_e32 v32, v30, v21
	v_sub_f32_e32 v21, v30, v21
	v_add_f32_e32 v30, v31, v22
	v_sub_f32_e32 v22, v31, v22
	v_add_f32_e32 v33, v33, v36
	v_mul_f32_e32 v31, 0xbf7ee86f, v22
	v_mul_f32_e32 v36, 0x3dbcf732, v30
	v_mov_b32_e32 v35, v31
	v_mov_b32_e32 v37, v36
	v_fma_f32 v31, v32, s2, -v31
	v_fmac_f32_e32 v36, 0xbf7ee86f, v21
	v_fmac_f32_e32 v35, 0x3dbcf732, v32
	v_add_f32_e32 v31, v31, v34
	v_add_f32_e32 v34, v36, v39
	v_mul_f32_e32 v36, 0xbe3c28d5, v22
	v_add_f32_e32 v35, v35, v38
	v_mov_b32_e32 v38, v36
	v_fma_f32 v36, v32, s15, -v36
	v_fmac_f32_e32 v37, 0x3f7ee86f, v21
	v_fmac_f32_e32 v38, 0xbf7ba420, v32
	v_mul_f32_e32 v39, 0xbf7ba420, v30
	v_add_f32_e32 v36, v36, v40
	v_mul_f32_e32 v40, 0x3f763a35, v22
	v_add_f32_e32 v37, v37, v41
	v_add_f32_e32 v38, v38, v43
	v_mov_b32_e32 v41, v39
	v_fmac_f32_e32 v39, 0xbe3c28d5, v21
	v_mov_b32_e32 v43, v40
	v_fma_f32 v40, v32, s3, -v40
	v_fmac_f32_e32 v41, 0x3e3c28d5, v21
	v_add_f32_e32 v39, v39, v45
	v_fmac_f32_e32 v43, 0xbe8c1d8e, v32
	v_mul_f32_e32 v45, 0xbe8c1d8e, v30
	v_add_f32_e32 v40, v40, v47
	v_mul_f32_e32 v47, 0x3eb8f4ab, v22
	v_add_f32_e32 v41, v41, v46
	v_add_f32_e32 v43, v43, v48
	v_mov_b32_e32 v46, v45
	v_fmac_f32_e32 v45, 0x3f763a35, v21
	v_mov_b32_e32 v48, v47
	v_fma_f32 v47, v32, s9, -v47
	v_fmac_f32_e32 v46, 0xbf763a35, v21
	v_add_f32_e32 v45, v45, v49
	v_fmac_f32_e32 v48, 0x3f6eb680, v32
	v_mul_f32_e32 v49, 0x3f6eb680, v30
	v_add_f32_e32 v47, v47, v50
	v_mul_f32_e32 v50, 0xbf65296c, v22
	v_add_f32_e32 v46, v46, v52
	v_add_f32_e32 v48, v48, v51
	v_mov_b32_e32 v51, v49
	v_fmac_f32_e32 v49, 0x3eb8f4ab, v21
	v_mov_b32_e32 v52, v50
	v_add_f32_e32 v49, v49, v53
	v_fmac_f32_e32 v52, 0x3ee437d1, v32
	v_mul_f32_e32 v53, 0x3ee437d1, v30
	v_fma_f32 v50, v32, s6, -v50
	v_add_f32_e32 v52, v52, v56
	v_mov_b32_e32 v56, v53
	v_add_f32_e32 v50, v50, v54
	v_fmac_f32_e32 v53, 0xbf65296c, v21
	v_mul_f32_e32 v54, 0xbf06c442, v22
	v_add_f32_e32 v53, v53, v55
	v_mov_b32_e32 v55, v54
	v_fmac_f32_e32 v55, 0xbf59a7d5, v32
	v_fmac_f32_e32 v51, 0xbeb8f4ab, v21
	v_add_f32_e32 v55, v55, v58
	v_mul_f32_e32 v58, 0xbf59a7d5, v30
	v_add_f32_e32 v51, v51, v62
	v_mov_b32_e32 v62, v58
	v_fma_f32 v54, v32, s14, -v54
	v_fmac_f32_e32 v58, 0xbf06c442, v21
	v_add_f32_e32 v54, v54, v57
	v_add_f32_e32 v57, v58, v63
	v_mul_f32_e32 v58, 0x3f4c4adb, v22
	v_mov_b32_e32 v63, v58
	v_fmac_f32_e32 v63, 0xbf1a4643, v32
	v_fmac_f32_e32 v56, 0x3f65296c, v21
	v_add_f32_e32 v60, v63, v60
	v_mul_f32_e32 v63, 0xbf1a4643, v30
	v_add_f32_e32 v56, v56, v64
	v_mov_b32_e32 v64, v63
	v_fma_f32 v58, v32, s8, -v58
	v_fmac_f32_e32 v63, 0x3f4c4adb, v21
	v_mul_f32_e32 v22, 0x3f2c7751, v22
	v_add_f32_e32 v58, v58, v59
	v_add_f32_e32 v59, v63, v65
	v_mov_b32_e32 v63, v22
	v_fmac_f32_e32 v63, 0x3f3d2fb0, v32
	v_mul_f32_e32 v30, 0x3f3d2fb0, v30
	v_add_f32_e32 v61, v63, v61
	v_mov_b32_e32 v63, v30
	v_fmac_f32_e32 v30, 0x3f2c7751, v21
	v_fmac_f32_e32 v62, 0x3f06c442, v21
	;; [unrolled: 1-line block ×4, first 2 shown]
	v_add_f32_e32 v21, v30, v23
	v_add_f32_e32 v23, v16, v18
	v_sub_f32_e32 v16, v16, v18
	v_add_f32_e32 v18, v17, v19
	v_sub_f32_e32 v17, v17, v19
	v_fma_f32 v22, v32, s7, -v22
	v_mul_f32_e32 v19, 0xbf763a35, v17
	v_mul_f32_e32 v32, 0xbe8c1d8e, v18
	v_add_f32_e32 v22, v22, v33
	v_mov_b32_e32 v30, v19
	v_mov_b32_e32 v33, v32
	v_fma_f32 v19, v23, s3, -v19
	v_fmac_f32_e32 v32, 0xbf763a35, v16
	v_add_f32_e32 v19, v19, v31
	v_add_f32_e32 v31, v32, v34
	v_mul_f32_e32 v32, 0x3f06c442, v17
	v_fmac_f32_e32 v30, 0xbe8c1d8e, v23
	v_mov_b32_e32 v34, v32
	v_fma_f32 v32, v23, s14, -v32
	v_add_f32_e32 v30, v30, v35
	v_fmac_f32_e32 v33, 0x3f763a35, v16
	v_fmac_f32_e32 v34, 0xbf59a7d5, v23
	v_mul_f32_e32 v35, 0xbf59a7d5, v18
	v_add_f32_e32 v32, v32, v36
	v_mul_f32_e32 v36, 0x3f2c7751, v17
	v_add_f32_e32 v33, v33, v37
	v_add_f32_e32 v34, v34, v38
	v_mov_b32_e32 v37, v35
	v_fmac_f32_e32 v35, 0x3f06c442, v16
	v_mov_b32_e32 v38, v36
	v_fma_f32 v36, v23, s7, -v36
	v_fmac_f32_e32 v37, 0xbf06c442, v16
	v_add_f32_e32 v35, v35, v39
	v_fmac_f32_e32 v38, 0x3f3d2fb0, v23
	v_mul_f32_e32 v39, 0x3f3d2fb0, v18
	v_add_f32_e32 v36, v36, v40
	v_mul_f32_e32 v40, 0xbf65296c, v17
	v_add_f32_e32 v37, v37, v41
	v_add_f32_e32 v38, v38, v43
	v_mov_b32_e32 v41, v39
	v_fmac_f32_e32 v39, 0x3f2c7751, v16
	v_mov_b32_e32 v43, v40
	v_fma_f32 v40, v23, s6, -v40
	v_fmac_f32_e32 v41, 0xbf2c7751, v16
	v_add_f32_e32 v39, v39, v45
	;; [unrolled: 12-line block ×4, first 2 shown]
	v_fmac_f32_e32 v52, 0x3dbcf732, v23
	v_mul_f32_e32 v53, 0x3dbcf732, v18
	v_add_f32_e32 v50, v50, v54
	v_mul_f32_e32 v54, 0xbeb8f4ab, v17
	v_add_f32_e32 v51, v51, v56
	v_add_f32_e32 v52, v52, v55
	v_mov_b32_e32 v55, v53
	v_fmac_f32_e32 v53, 0x3f7ee86f, v16
	v_mov_b32_e32 v56, v54
	v_add_f32_e32 v53, v53, v57
	v_fmac_f32_e32 v56, 0x3f6eb680, v23
	v_mul_f32_e32 v57, 0x3f6eb680, v18
	v_add_f32_e32 v56, v56, v60
	v_mov_b32_e32 v60, v57
	v_fmac_f32_e32 v57, 0xbeb8f4ab, v16
	v_mul_f32_e32 v18, 0xbf1a4643, v18
	v_fma_f32 v54, v23, s9, -v54
	v_add_f32_e32 v57, v57, v59
	v_mul_f32_e32 v17, 0xbf4c4adb, v17
	v_mov_b32_e32 v59, v18
	v_fmac_f32_e32 v18, 0xbf4c4adb, v16
	v_fmac_f32_e32 v55, 0xbf7ee86f, v16
	;; [unrolled: 1-line block ×3, first 2 shown]
	v_add_f32_e32 v54, v54, v58
	v_mov_b32_e32 v58, v17
	v_fmac_f32_e32 v59, 0x3f4c4adb, v16
	v_fma_f32 v17, v23, s8, -v17
	v_add_f32_e32 v16, v18, v21
	v_add_f32_e32 v18, v12, v14
	v_sub_f32_e32 v12, v12, v14
	v_add_f32_e32 v14, v13, v15
	v_sub_f32_e32 v13, v13, v15
	v_add_f32_e32 v17, v17, v22
	v_mul_f32_e32 v15, 0xbf4c4adb, v13
	v_mul_f32_e32 v22, 0xbf1a4643, v14
	v_fmac_f32_e32 v58, 0xbf1a4643, v23
	v_mov_b32_e32 v21, v15
	v_mov_b32_e32 v23, v22
	v_fma_f32 v15, v18, s8, -v15
	v_fmac_f32_e32 v22, 0xbf4c4adb, v12
	v_fmac_f32_e32 v21, 0xbf1a4643, v18
	v_add_f32_e32 v15, v15, v19
	v_add_f32_e32 v19, v22, v31
	v_mul_f32_e32 v22, 0x3f763a35, v13
	v_add_f32_e32 v21, v21, v30
	v_mov_b32_e32 v30, v22
	v_fma_f32 v22, v18, s3, -v22
	v_fmac_f32_e32 v23, 0x3f4c4adb, v12
	v_fmac_f32_e32 v30, 0xbe8c1d8e, v18
	v_mul_f32_e32 v31, 0xbe8c1d8e, v14
	v_add_f32_e32 v22, v22, v32
	v_mul_f32_e32 v32, 0xbeb8f4ab, v13
	v_add_f32_e32 v23, v23, v33
	v_add_f32_e32 v30, v30, v34
	v_mov_b32_e32 v33, v31
	v_fmac_f32_e32 v31, 0x3f763a35, v12
	v_mov_b32_e32 v34, v32
	v_fma_f32 v32, v18, s9, -v32
	v_fmac_f32_e32 v33, 0xbf763a35, v12
	v_add_f32_e32 v31, v31, v35
	v_fmac_f32_e32 v34, 0x3f6eb680, v18
	v_mul_f32_e32 v35, 0x3f6eb680, v14
	v_add_f32_e32 v32, v32, v36
	v_mul_f32_e32 v36, 0xbf06c442, v13
	v_add_f32_e32 v33, v33, v37
	v_add_f32_e32 v34, v34, v38
	v_mov_b32_e32 v37, v35
	v_fmac_f32_e32 v35, 0xbeb8f4ab, v12
	v_mov_b32_e32 v38, v36
	v_fma_f32 v36, v18, s14, -v36
	v_fmac_f32_e32 v37, 0x3eb8f4ab, v12
	v_add_f32_e32 v35, v35, v39
	;; [unrolled: 12-line block ×3, first 2 shown]
	v_fmac_f32_e32 v43, 0x3dbcf732, v18
	v_mul_f32_e32 v45, 0x3dbcf732, v14
	v_add_f32_e32 v40, v40, v47
	v_mul_f32_e32 v47, 0xbf2c7751, v13
	v_add_f32_e32 v41, v41, v46
	v_add_f32_e32 v43, v43, v48
	v_mov_b32_e32 v46, v45
	v_fmac_f32_e32 v45, 0x3f7ee86f, v12
	v_mov_b32_e32 v48, v47
	v_fma_f32 v47, v18, s7, -v47
	v_add_f32_e32 v66, v66, v70
	v_fmac_f32_e32 v46, 0xbf7ee86f, v12
	v_add_f32_e32 v45, v45, v49
	v_fmac_f32_e32 v48, 0x3f3d2fb0, v18
	v_mul_f32_e32 v49, 0x3f3d2fb0, v14
	v_add_f32_e32 v47, v47, v50
	v_mul_f32_e32 v50, 0xbe3c28d5, v13
	v_add_f32_e32 v62, v62, v66
	v_add_f32_e32 v46, v46, v51
	;; [unrolled: 1-line block ×3, first 2 shown]
	v_mov_b32_e32 v51, v49
	v_fmac_f32_e32 v49, 0xbf2c7751, v12
	v_mov_b32_e32 v52, v50
	v_add_f32_e32 v55, v55, v62
	v_fmac_f32_e32 v51, 0x3f2c7751, v12
	v_add_f32_e32 v49, v49, v53
	v_fmac_f32_e32 v52, 0xbf7ba420, v18
	v_mul_f32_e32 v53, 0xbf7ba420, v14
	v_mul_f32_e32 v14, 0x3ee437d1, v14
	v_add_f32_e32 v51, v51, v55
	v_add_f32_e32 v52, v52, v56
	v_mov_b32_e32 v55, v53
	v_mov_b32_e32 v56, v14
	v_fmac_f32_e32 v14, 0x3f65296c, v12
	v_fmac_f32_e32 v55, 0x3e3c28d5, v12
	v_fma_f32 v50, v18, s15, -v50
	v_fmac_f32_e32 v53, 0xbe3c28d5, v12
	v_mul_f32_e32 v13, 0x3f65296c, v13
	v_fmac_f32_e32 v56, 0xbf65296c, v12
	v_add_f32_e32 v12, v14, v16
	v_add_f32_e32 v16, v7, v9
	v_sub_f32_e32 v7, v7, v9
	v_add_f32_e32 v50, v50, v54
	v_mov_b32_e32 v54, v13
	v_fma_f32 v13, v18, s6, -v13
	v_add_f32_e32 v14, v6, v8
	v_sub_f32_e32 v6, v6, v8
	v_mul_f32_e32 v8, 0xbf06c442, v7
	v_add_f32_e32 v13, v13, v17
	v_mov_b32_e32 v9, v8
	v_mul_f32_e32 v17, 0xbf59a7d5, v16
	v_fmac_f32_e32 v54, 0x3ee437d1, v18
	v_fmac_f32_e32 v9, 0xbf59a7d5, v14
	v_mov_b32_e32 v18, v17
	v_fma_f32 v8, v14, s14, -v8
	v_fmac_f32_e32 v17, 0xbf06c442, v6
	v_add_f32_e32 v9, v9, v21
	v_fmac_f32_e32 v18, 0x3f06c442, v6
	v_add_f32_e32 v8, v8, v15
	v_add_f32_e32 v15, v17, v19
	v_mul_f32_e32 v17, 0x3f65296c, v7
	v_mul_f32_e32 v21, 0x3ee437d1, v16
	v_add_f32_e32 v18, v18, v23
	v_mov_b32_e32 v19, v17
	v_mov_b32_e32 v23, v21
	v_fma_f32 v17, v14, s6, -v17
	v_fmac_f32_e32 v21, 0x3f65296c, v6
	v_fmac_f32_e32 v19, 0x3ee437d1, v14
	;; [unrolled: 1-line block ×3, first 2 shown]
	v_add_f32_e32 v17, v17, v22
	v_add_f32_e32 v21, v21, v31
	v_mul_f32_e32 v22, 0xbf7ee86f, v7
	v_mul_f32_e32 v31, 0x3dbcf732, v16
	v_add_f32_e32 v19, v19, v30
	v_add_f32_e32 v23, v23, v33
	v_mov_b32_e32 v30, v22
	v_mov_b32_e32 v33, v31
	v_fma_f32 v22, v14, s2, -v22
	v_fmac_f32_e32 v33, 0x3f7ee86f, v6
	v_add_f32_e32 v22, v22, v32
	v_mul_f32_e32 v32, 0x3f4c4adb, v7
	v_add_f32_e32 v37, v33, v37
	v_mov_b32_e32 v33, v32
	v_fmac_f32_e32 v33, 0xbf1a4643, v14
	v_fmac_f32_e32 v30, 0x3dbcf732, v14
	v_add_f32_e32 v38, v33, v38
	v_mul_f32_e32 v33, 0xbf1a4643, v16
	v_fma_f32 v32, v14, s8, -v32
	v_add_f32_e32 v53, v53, v57
	v_add_f32_e32 v30, v30, v34
	v_mov_b32_e32 v34, v33
	v_add_f32_e32 v57, v32, v36
	v_fmac_f32_e32 v33, 0x3f4c4adb, v6
	v_mul_f32_e32 v32, 0xbeb8f4ab, v7
	v_add_f32_e32 v39, v33, v39
	v_mov_b32_e32 v33, v32
	v_fmac_f32_e32 v33, 0x3f6eb680, v14
	v_fmac_f32_e32 v34, 0xbf4c4adb, v6
	v_add_f32_e32 v43, v33, v43
	v_mul_f32_e32 v33, 0x3f6eb680, v16
	v_fma_f32 v32, v14, s9, -v32
	v_add_f32_e32 v41, v34, v41
	v_mov_b32_e32 v34, v33
	v_add_f32_e32 v40, v32, v40
	v_fmac_f32_e32 v33, 0xbeb8f4ab, v6
	v_mul_f32_e32 v32, 0xbe3c28d5, v7
	v_add_f32_e32 v45, v33, v45
	v_mov_b32_e32 v33, v32
	v_fmac_f32_e32 v33, 0xbf7ba420, v14
	v_fmac_f32_e32 v34, 0x3eb8f4ab, v6
	v_add_f32_e32 v48, v33, v48
	v_mul_f32_e32 v33, 0xbf7ba420, v16
	v_fma_f32 v32, v14, s15, -v32
	v_add_f32_e32 v46, v34, v46
	v_mov_b32_e32 v34, v33
	v_add_f32_e32 v47, v32, v47
	v_fmac_f32_e32 v33, 0xbe3c28d5, v6
	v_mul_f32_e32 v32, 0x3f2c7751, v7
	v_add_f32_e32 v49, v33, v49
	v_mov_b32_e32 v33, v32
	v_fma_f32 v32, v14, s7, -v32
	v_mul_f32_e32 v7, 0xbf763a35, v7
	v_add_f32_e32 v72, v72, v74
	v_add_f32_e32 v58, v58, v61
	v_fmac_f32_e32 v33, 0x3f3d2fb0, v14
	v_add_f32_e32 v50, v32, v50
	v_mov_b32_e32 v32, v7
	v_add_f32_e32 v68, v68, v72
	v_add_f32_e32 v54, v54, v58
	v_fmac_f32_e32 v34, 0x3e3c28d5, v6
	v_add_f32_e32 v52, v33, v52
	v_mul_f32_e32 v33, 0x3f3d2fb0, v16
	v_fmac_f32_e32 v32, 0xbe8c1d8e, v14
	v_mul_f32_e32 v16, 0xbe8c1d8e, v16
	v_add_f32_e32 v64, v64, v68
	v_add_f32_e32 v51, v34, v51
	v_mov_b32_e32 v34, v33
	v_add_f32_e32 v54, v32, v54
	v_mov_b32_e32 v32, v16
	v_add_f32_e32 v71, v71, v76
	v_add_f32_e32 v60, v60, v64
	v_fmac_f32_e32 v31, 0xbf7ee86f, v6
	v_fmac_f32_e32 v34, 0xbf2c7751, v6
	;; [unrolled: 1-line block ×5, first 2 shown]
	v_sub_f32_e32 v6, v3, v5
	v_add_f32_e32 v67, v67, v71
	v_add_f32_e32 v55, v55, v60
	v_fma_f32 v7, v14, s3, -v7
	v_add_f32_e32 v60, v2, v4
	v_sub_f32_e32 v61, v2, v4
	v_mul_f32_e32 v2, 0xbe3c28d5, v6
	v_add_f32_e32 v63, v63, v67
	v_add_f32_e32 v58, v7, v13
	;; [unrolled: 1-line block ×3, first 2 shown]
	v_mov_b32_e32 v3, v2
	v_add_f32_e32 v59, v59, v63
	v_fmac_f32_e32 v3, 0xbf7ba420, v60
	v_add_f32_e32 v56, v56, v59
	v_add_f32_e32 v59, v16, v12
	;; [unrolled: 1-line block ×3, first 2 shown]
	v_mul_f32_e32 v3, 0xbf7ba420, v7
	v_fma_f32 v2, v60, s15, -v2
	v_add_f32_e32 v56, v32, v56
	v_mov_b32_e32 v4, v3
	v_add_f32_e32 v32, v2, v8
	v_fmac_f32_e32 v3, 0xbe3c28d5, v61
	v_mul_f32_e32 v2, 0x3eb8f4ab, v6
	v_add_f32_e32 v53, v33, v53
	v_add_f32_e32 v33, v3, v15
	v_mov_b32_e32 v3, v2
	v_fmac_f32_e32 v3, 0x3f6eb680, v60
	v_fmac_f32_e32 v4, 0x3e3c28d5, v61
	v_add_f32_e32 v14, v3, v19
	v_mul_f32_e32 v3, 0x3f6eb680, v7
	v_fma_f32 v2, v60, s9, -v2
	v_add_f32_e32 v55, v34, v55
	v_add_f32_e32 v13, v4, v18
	v_mov_b32_e32 v4, v3
	v_add_f32_e32 v34, v2, v17
	v_fmac_f32_e32 v3, 0x3eb8f4ab, v61
	v_mul_f32_e32 v2, 0xbf06c442, v6
	v_add_f32_e32 v31, v31, v35
	v_add_f32_e32 v35, v3, v21
	v_mov_b32_e32 v3, v2
	v_fmac_f32_e32 v3, 0xbf59a7d5, v60
	v_fmac_f32_e32 v4, 0xbeb8f4ab, v61
	v_add_f32_e32 v16, v3, v30
	v_mul_f32_e32 v3, 0xbf59a7d5, v7
	v_add_f32_e32 v15, v4, v23
	v_mov_b32_e32 v4, v3
	v_fma_f32 v2, v60, s14, -v2
	v_fmac_f32_e32 v4, 0x3f06c442, v61
	v_add_f32_e32 v36, v2, v22
	v_fmac_f32_e32 v3, 0xbf06c442, v61
	v_mul_f32_e32 v2, 0x3f2c7751, v6
	v_add_f32_e32 v17, v4, v37
	v_add_f32_e32 v37, v3, v31
	v_mov_b32_e32 v3, v2
	v_fmac_f32_e32 v3, 0x3f3d2fb0, v60
	v_add_f32_e32 v18, v3, v38
	v_mul_f32_e32 v3, 0x3f3d2fb0, v7
	v_fma_f32 v2, v60, s7, -v2
	v_mov_b32_e32 v4, v3
	v_add_f32_e32 v38, v2, v57
	v_fmac_f32_e32 v3, 0x3f2c7751, v61
	v_mul_f32_e32 v2, 0xbf4c4adb, v6
	v_add_f32_e32 v39, v3, v39
	v_mov_b32_e32 v3, v2
	v_fmac_f32_e32 v3, 0xbf1a4643, v60
	v_fmac_f32_e32 v4, 0xbf2c7751, v61
	v_add_f32_e32 v21, v3, v43
	v_mul_f32_e32 v3, 0xbf1a4643, v7
	v_fma_f32 v2, v60, s8, -v2
	v_add_f32_e32 v19, v4, v41
	v_mov_b32_e32 v4, v3
	v_add_f32_e32 v30, v2, v40
	v_fmac_f32_e32 v3, 0xbf4c4adb, v61
	v_mul_f32_e32 v2, 0x3f65296c, v6
	v_add_f32_e32 v31, v3, v45
	v_mov_b32_e32 v3, v2
	v_fmac_f32_e32 v3, 0x3ee437d1, v60
	v_fmac_f32_e32 v4, 0x3f4c4adb, v61
	v_add_f32_e32 v40, v3, v48
	v_mul_f32_e32 v3, 0x3ee437d1, v7
	v_add_f32_e32 v22, v4, v46
	v_mov_b32_e32 v4, v3
	v_fmac_f32_e32 v4, 0xbf65296c, v61
	v_add_f32_e32 v41, v4, v51
	v_mul_f32_e32 v4, 0xbf763a35, v6
	v_mov_b32_e32 v5, v4
	v_fmac_f32_e32 v5, 0xbe8c1d8e, v60
	v_add_f32_e32 v45, v5, v52
	v_mul_f32_e32 v5, 0xbe8c1d8e, v7
	;; [unrolled: 4-line block ×3, first 2 shown]
	v_mul_f32_e32 v9, 0x3dbcf732, v7
	v_mov_b32_e32 v6, v8
	v_mov_b32_e32 v7, v9
	;; [unrolled: 1-line block ×3, first 2 shown]
	v_fma_f32 v2, v60, s6, -v2
	v_fmac_f32_e32 v3, 0x3f65296c, v61
	v_fma_f32 v4, v60, s3, -v4
	v_fmac_f32_e32 v5, 0xbf763a35, v61
	v_fmac_f32_e32 v6, 0x3dbcf732, v60
	;; [unrolled: 1-line block ×3, first 2 shown]
	v_fma_f32 v8, v60, s2, -v8
	v_fmac_f32_e32 v9, 0x3f7ee86f, v61
	v_lshlrev_b32_sdwa v10, v23, v10 dst_sel:DWORD dst_unused:UNUSED_PAD src0_sel:DWORD src1_sel:BYTE_0
	v_add_f32_e32 v2, v2, v47
	v_add_f32_e32 v3, v3, v49
	;; [unrolled: 1-line block ×8, first 2 shown]
	v_add3_u32 v10, 0, v11, v10
	s_barrier
	ds_write2_b64 v10, v[0:1], v[12:13] offset1:17
	ds_write2_b64 v10, v[14:15], v[16:17] offset0:34 offset1:51
	ds_write2_b64 v10, v[18:19], v[21:22] offset0:68 offset1:85
	ds_write2_b64 v10, v[40:41], v[45:46] offset0:102 offset1:119
	ds_write2_b64 v10, v[6:7], v[8:9] offset0:136 offset1:153
	ds_write2_b64 v10, v[4:5], v[2:3] offset0:170 offset1:187
	ds_write2_b64 v10, v[30:31], v[38:39] offset0:204 offset1:221
	ds_write2_b64 v10, v[36:37], v[34:35] offset0:238 offset1:255
	ds_write_b64 v10, v[32:33] offset:2176
	s_waitcnt lgkmcnt(0)
	s_barrier
	ds_read2_b64 v[0:3], v44 offset1:102
	ds_read2_b64 v[12:15], v42 offset0:33 offset1:135
	ds_read2_b64 v[8:11], v20 offset0:66 offset1:168
	;; [unrolled: 1-line block ×3, first 2 shown]
	v_add_u32_e32 v45, 0x2000, v44
	v_add_u32_e32 v46, 0x2c00, v44
	ds_read2_b64 v[16:19], v45 offset0:132 offset1:234
	ds_read2_b64 v[20:23], v46 offset0:37 offset1:139
	s_movk_i32 s2, 0x55
	v_cmp_gt_u32_e32 vcc, s2, v26
                                        ; implicit-def: $vgpr41
	s_and_saveexec_b64 s[2:3], vcc
	s_cbranch_execz .LBB0_23
; %bb.22:
	ds_read_b64 v[30:31], v44 offset:1632
	ds_read_b64 v[38:39], v44 offset:3944
	;; [unrolled: 1-line block ×6, first 2 shown]
.LBB0_23:
	s_or_b64 exec, exec, s[2:3]
	v_mul_u32_u24_e32 v43, 5, v26
	v_lshlrev_b32_e32 v43, 3, v43
	global_load_dwordx4 v[47:50], v43, s[12:13] offset:2176
	global_load_dwordx4 v[51:54], v43, s[12:13] offset:2192
	v_mov_b32_e32 v55, s13
	global_load_dwordx2 v[63:64], v43, s[12:13] offset:2208
	v_add_co_u32_e64 v43, s[2:3], s12, v43
	s_movk_i32 s7, 0x1000
	v_addc_co_u32_e64 v59, s[2:3], 0, v55, s[2:3]
	v_add_co_u32_e64 v55, s[2:3], s7, v43
	s_movk_i32 s6, 0x1870
	v_addc_co_u32_e64 v56, s[2:3], 0, v59, s[2:3]
	global_load_dwordx4 v[55:58], v[55:56], off offset:2160
	v_add_co_u32_e64 v65, s[2:3], s6, v43
	v_addc_co_u32_e64 v66, s[2:3], 0, v59, s[2:3]
	global_load_dwordx4 v[59:62], v[65:66], off offset:16
	global_load_dwordx2 v[67:68], v[65:66], off offset:32
	v_mov_b32_e32 v43, 0
	s_waitcnt vmcnt(0) lgkmcnt(0)
	s_barrier
	v_mul_f32_e32 v66, v50, v9
	v_mul_f32_e32 v70, v54, v17
	;; [unrolled: 1-line block ×8, first 2 shown]
	v_fmac_f32_e32 v66, v49, v8
	v_fmac_f32_e32 v70, v53, v16
	v_mul_f32_e32 v50, v50, v8
	v_mul_f32_e32 v64, v64, v20
	v_fmac_f32_e32 v65, v47, v12
	v_fma_f32 v12, v47, v13, -v48
	v_fmac_f32_e32 v69, v51, v4
	v_fma_f32 v4, v51, v5, -v52
	v_fma_f32 v5, v53, v17, -v54
	v_fmac_f32_e32 v71, v63, v20
	v_mul_f32_e32 v20, v56, v15
	v_mul_f32_e32 v17, v58, v10
	v_add_f32_e32 v53, v66, v70
	v_fma_f32 v8, v49, v9, -v50
	v_fma_f32 v9, v63, v21, -v64
	v_mul_f32_e32 v13, v56, v14
	v_mul_f32_e32 v16, v58, v11
	;; [unrolled: 1-line block ×3, first 2 shown]
	v_add_f32_e32 v52, v0, v66
	v_fmac_f32_e32 v20, v55, v14
	v_fma_f32 v14, v57, v11, -v17
	v_fma_f32 v11, -0.5, v53, v0
	v_add_f32_e32 v0, v12, v4
	v_fma_f32 v55, v55, v15, -v13
	v_fma_f32 v15, v59, v7, -v47
	v_add_f32_e32 v47, v0, v9
	v_add_f32_e32 v0, v4, v9
	v_mul_f32_e32 v48, v19, v62
	v_mul_f32_e32 v49, v18, v62
	v_add_f32_e32 v62, v69, v71
	v_fmac_f32_e32 v12, -0.5, v0
	v_mul_f32_e32 v21, v60, v7
	v_add_f32_e32 v56, v1, v8
	v_add_f32_e32 v60, v65, v69
	v_fmac_f32_e32 v65, -0.5, v62
	v_sub_f32_e32 v0, v69, v71
	v_mov_b32_e32 v7, v12
	v_mul_f32_e32 v50, v23, v68
	v_sub_f32_e32 v54, v8, v5
	v_add_f32_e32 v8, v8, v5
	v_sub_f32_e32 v63, v4, v9
	v_add_f32_e32 v13, v56, v5
	v_mov_b32_e32 v5, v65
	v_fmac_f32_e32 v7, 0x3f5db3d7, v0
	v_fmac_f32_e32 v12, 0xbf5db3d7, v0
	v_mul_f32_e32 v51, v22, v68
	v_sub_f32_e32 v58, v66, v70
	v_fmac_f32_e32 v16, v57, v10
	v_fma_f32 v17, v19, v61, -v49
	v_fmac_f32_e32 v50, v22, v67
	v_add_f32_e32 v10, v52, v70
	v_fma_f32 v19, -0.5, v8, v1
	v_mov_b32_e32 v22, v11
	v_fmac_f32_e32 v65, 0x3f5db3d7, v63
	v_fmac_f32_e32 v5, 0xbf5db3d7, v63
	v_mul_f32_e32 v9, 0xbf5db3d7, v7
	v_mul_f32_e32 v52, -0.5, v12
	v_fmac_f32_e32 v48, v18, v61
	v_fma_f32 v18, v23, v67, -v51
	v_add_f32_e32 v8, v60, v71
	v_mov_b32_e32 v23, v19
	v_fmac_f32_e32 v19, 0xbf5db3d7, v58
	v_fmac_f32_e32 v22, 0xbf5db3d7, v54
	v_fmac_f32_e32 v9, 0.5, v5
	v_fmac_f32_e32 v52, 0x3f5db3d7, v65
	v_add_f32_e32 v0, v10, v8
	v_add_f32_e32 v4, v22, v9
	;; [unrolled: 1-line block ×3, first 2 shown]
	v_mul_f32_e32 v51, 0.5, v7
	v_add_f32_e32 v7, v19, v52
	v_sub_f32_e32 v8, v10, v8
	v_sub_f32_e32 v10, v22, v9
	;; [unrolled: 1-line block ×4, first 2 shown]
	v_add_f32_e32 v19, v2, v16
	v_mul_f32_e32 v49, 0xbf5db3d7, v12
	v_add_f32_e32 v22, v19, v48
	v_add_f32_e32 v19, v16, v48
	v_fmac_f32_e32 v11, 0x3f5db3d7, v54
	v_fmac_f32_e32 v23, 0x3f5db3d7, v58
	v_fmac_f32_e32 v49, -0.5, v65
	v_fmac_f32_e32 v51, 0x3f5db3d7, v5
	v_fma_f32 v2, -0.5, v19, v2
	v_fmac_f32_e32 v21, v59, v6
	v_add_f32_e32 v6, v11, v49
	v_add_f32_e32 v5, v23, v51
	v_sub_f32_e32 v12, v11, v49
	v_sub_f32_e32 v11, v23, v51
	v_sub_f32_e32 v19, v14, v17
	v_mov_b32_e32 v23, v2
	v_fmac_f32_e32 v23, 0xbf5db3d7, v19
	v_fmac_f32_e32 v2, 0x3f5db3d7, v19
	v_add_f32_e32 v19, v3, v14
	v_add_f32_e32 v14, v14, v17
	v_fmac_f32_e32 v3, -0.5, v14
	v_sub_f32_e32 v14, v16, v48
	v_mov_b32_e32 v48, v3
	v_fmac_f32_e32 v48, 0x3f5db3d7, v14
	v_fmac_f32_e32 v3, 0xbf5db3d7, v14
	v_add_f32_e32 v14, v20, v21
	v_add_f32_e32 v49, v14, v50
	;; [unrolled: 1-line block ×3, first 2 shown]
	v_fmac_f32_e32 v20, -0.5, v14
	v_add_f32_e32 v47, v19, v17
	v_sub_f32_e32 v14, v15, v18
	v_mov_b32_e32 v17, v20
	v_fmac_f32_e32 v17, 0xbf5db3d7, v14
	v_fmac_f32_e32 v20, 0x3f5db3d7, v14
	v_add_f32_e32 v14, v55, v15
	v_add_f32_e32 v51, v14, v18
	;; [unrolled: 1-line block ×3, first 2 shown]
	v_fmac_f32_e32 v55, -0.5, v14
	v_sub_f32_e32 v14, v21, v50
	v_mov_b32_e32 v19, v55
	v_fmac_f32_e32 v19, 0x3f5db3d7, v14
	v_fmac_f32_e32 v55, 0xbf5db3d7, v14
	v_mul_f32_e32 v21, 0xbf5db3d7, v19
	v_mul_f32_e32 v50, 0xbf5db3d7, v55
	v_mul_f32_e32 v52, 0.5, v19
	v_mul_f32_e32 v53, -0.5, v55
	v_add_f32_e32 v14, v22, v49
	v_fmac_f32_e32 v21, 0.5, v17
	v_fmac_f32_e32 v50, -0.5, v20
	v_add_f32_e32 v15, v47, v51
	v_fmac_f32_e32 v52, 0x3f5db3d7, v17
	v_fmac_f32_e32 v53, 0x3f5db3d7, v20
	v_add_f32_e32 v16, v23, v21
	v_add_f32_e32 v18, v2, v50
	;; [unrolled: 1-line block ×4, first 2 shown]
	ds_write2_b64 v44, v[0:1], v[14:15] offset1:102
	ds_write2_b64 v42, v[4:5], v[16:17] offset0:33 offset1:135
	v_add_u32_e32 v0, 0x1000, v44
	v_sub_f32_e32 v20, v22, v49
	v_sub_f32_e32 v22, v23, v21
	;; [unrolled: 1-line block ×6, first 2 shown]
	ds_write2_b64 v0, v[6:7], v[18:19] offset0:66 offset1:168
	ds_write2_b64 v27, v[8:9], v[20:21] offset0:99 offset1:201
	;; [unrolled: 1-line block ×4, first 2 shown]
	s_and_saveexec_b64 s[2:3], vcc
	s_cbranch_execz .LBB0_25
; %bb.24:
	v_add_u32_e32 v0, 0xcc, v26
	v_add_u32_e32 v1, 0xffffffab, v26
	v_cndmask_b32_e32 v0, v1, v0, vcc
	v_mul_i32_i24_e32 v42, 5, v0
	v_lshlrev_b64 v[0:1], 3, v[42:43]
	v_mov_b32_e32 v2, s13
	v_add_co_u32_e32 v8, vcc, s12, v0
	v_addc_co_u32_e32 v9, vcc, v2, v1, vcc
	global_load_dwordx4 v[0:3], v[8:9], off offset:2176
	global_load_dwordx4 v[4:7], v[8:9], off offset:2192
	global_load_dwordx2 v[10:11], v[8:9], off offset:2208
	s_waitcnt vmcnt(2)
	v_mul_f32_e32 v8, v36, v3
	s_waitcnt vmcnt(1)
	v_mul_f32_e32 v9, v32, v7
	v_mul_f32_e32 v3, v37, v3
	v_mul_f32_e32 v13, v35, v5
	s_waitcnt vmcnt(0)
	v_mul_f32_e32 v14, v41, v11
	v_mul_f32_e32 v5, v34, v5
	;; [unrolled: 1-line block ×6, first 2 shown]
	v_fma_f32 v8, v37, v2, -v8
	v_fma_f32 v9, v33, v6, -v9
	v_fmac_f32_e32 v3, v36, v2
	v_fmac_f32_e32 v13, v34, v4
	v_fma_f32 v2, v35, v4, -v5
	v_fma_f32 v4, v41, v10, -v11
	v_fmac_f32_e32 v7, v32, v6
	v_fmac_f32_e32 v12, v38, v0
	;; [unrolled: 1-line block ×3, first 2 shown]
	v_fma_f32 v0, v39, v0, -v1
	v_add_f32_e32 v1, v8, v9
	v_add_f32_e32 v11, v2, v4
	v_sub_f32_e32 v5, v3, v7
	v_add_f32_e32 v6, v13, v14
	v_sub_f32_e32 v10, v2, v4
	v_sub_f32_e32 v15, v13, v14
	v_add_f32_e32 v16, v31, v8
	v_add_f32_e32 v2, v0, v2
	;; [unrolled: 1-line block ×5, first 2 shown]
	v_fma_f32 v18, -0.5, v1, v31
	v_fma_f32 v11, -0.5, v11, v0
	v_sub_f32_e32 v8, v8, v9
	v_fma_f32 v6, -0.5, v6, v12
	v_add_f32_e32 v9, v16, v9
	v_add_f32_e32 v2, v2, v4
	v_fma_f32 v4, -0.5, v17, v30
	v_add_f32_e32 v7, v3, v7
	v_add_f32_e32 v12, v13, v14
	v_mov_b32_e32 v13, v18
	v_mov_b32_e32 v16, v11
	v_fmac_f32_e32 v11, 0x3f5db3d7, v15
	v_mov_b32_e32 v14, v6
	v_fmac_f32_e32 v18, 0x3f5db3d7, v5
	v_fmac_f32_e32 v6, 0xbf5db3d7, v10
	v_sub_f32_e32 v1, v9, v2
	v_mov_b32_e32 v17, v4
	v_sub_f32_e32 v0, v7, v12
	v_add_f32_e32 v3, v9, v2
	v_add_f32_e32 v2, v7, v12
	v_fmac_f32_e32 v13, 0xbf5db3d7, v5
	v_fmac_f32_e32 v16, 0xbf5db3d7, v15
	v_mul_f32_e32 v5, 0.5, v11
	v_mul_f32_e32 v7, 0xbf5db3d7, v11
	v_fmac_f32_e32 v4, 0xbf5db3d7, v8
	v_fmac_f32_e32 v14, 0x3f5db3d7, v10
	;; [unrolled: 1-line block ×3, first 2 shown]
	v_mul_f32_e32 v8, -0.5, v16
	v_fmac_f32_e32 v5, 0x3f5db3d7, v6
	v_mul_f32_e32 v9, 0xbf5db3d7, v16
	v_fmac_f32_e32 v7, 0.5, v6
	ds_write_b64 v44, v[2:3] offset:1632
	ds_write_b64 v44, v[0:1] offset:8568
	v_fmac_f32_e32 v8, 0x3f5db3d7, v14
	v_fmac_f32_e32 v9, -0.5, v14
	v_add_f32_e32 v3, v18, v5
	v_add_f32_e32 v2, v4, v7
	v_sub_f32_e32 v1, v18, v5
	v_sub_f32_e32 v0, v4, v7
	;; [unrolled: 1-line block ×4, first 2 shown]
	v_add_f32_e32 v7, v13, v8
	v_add_f32_e32 v6, v17, v9
	ds_write_b64 v44, v[2:3] offset:3944
	ds_write_b64 v44, v[0:1] offset:10880
	;; [unrolled: 1-line block ×4, first 2 shown]
.LBB0_25:
	s_or_b64 exec, exec, s[2:3]
	s_waitcnt lgkmcnt(0)
	s_barrier
	s_and_saveexec_b64 s[2:3], s[0:1]
	s_cbranch_execz .LBB0_27
; %bb.26:
	v_mul_lo_u32 v0, s5, v28
	v_mul_lo_u32 v1, s4, v29
	v_mad_u64_u32 v[4:5], s[0:1], s4, v28, 0
	v_mov_b32_e32 v7, s11
	v_lshl_add_u32 v6, v26, 3, 0
	v_add3_u32 v5, v5, v1, v0
	v_lshlrev_b64 v[4:5], 3, v[4:5]
	v_mov_b32_e32 v27, 0
	v_add_co_u32_e32 v8, vcc, s10, v4
	v_addc_co_u32_e32 v7, vcc, v7, v5, vcc
	v_lshlrev_b64 v[4:5], 3, v[24:25]
	ds_read2_b64 v[0:3], v6 offset1:102
	v_add_co_u32_e32 v8, vcc, v8, v4
	v_addc_co_u32_e32 v7, vcc, v7, v5, vcc
	v_lshlrev_b64 v[4:5], 3, v[26:27]
	v_add_co_u32_e32 v4, vcc, v8, v4
	v_addc_co_u32_e32 v5, vcc, v7, v5, vcc
	s_waitcnt lgkmcnt(0)
	global_store_dwordx2 v[4:5], v[0:1], off
	v_add_u32_e32 v0, 0x66, v26
	v_mov_b32_e32 v1, v27
	v_lshlrev_b64 v[0:1], 3, v[0:1]
	v_add_u32_e32 v4, 0xcc, v26
	v_add_co_u32_e32 v0, vcc, v8, v0
	v_addc_co_u32_e32 v1, vcc, v7, v1, vcc
	global_store_dwordx2 v[0:1], v[2:3], off
	v_add_u32_e32 v0, 0x400, v6
	v_mov_b32_e32 v5, v27
	ds_read2_b64 v[0:3], v0 offset0:76 offset1:178
	v_lshlrev_b64 v[4:5], 3, v[4:5]
	v_add_co_u32_e32 v4, vcc, v8, v4
	v_addc_co_u32_e32 v5, vcc, v7, v5, vcc
	s_waitcnt lgkmcnt(0)
	global_store_dwordx2 v[4:5], v[0:1], off
	v_add_u32_e32 v0, 0x132, v26
	v_mov_b32_e32 v1, v27
	v_lshlrev_b64 v[0:1], 3, v[0:1]
	v_add_u32_e32 v4, 0x198, v26
	v_add_co_u32_e32 v0, vcc, v8, v0
	v_addc_co_u32_e32 v1, vcc, v7, v1, vcc
	global_store_dwordx2 v[0:1], v[2:3], off
	v_add_u32_e32 v0, 0x800, v6
	v_mov_b32_e32 v5, v27
	ds_read2_b64 v[0:3], v0 offset0:152 offset1:254
	v_lshlrev_b64 v[4:5], 3, v[4:5]
	v_add_co_u32_e32 v4, vcc, v8, v4
	v_addc_co_u32_e32 v5, vcc, v7, v5, vcc
	s_waitcnt lgkmcnt(0)
	global_store_dwordx2 v[4:5], v[0:1], off
	v_add_u32_e32 v0, 0x1fe, v26
	v_mov_b32_e32 v1, v27
	v_lshlrev_b64 v[0:1], 3, v[0:1]
	v_add_u32_e32 v4, 0x264, v26
	v_add_co_u32_e32 v0, vcc, v8, v0
	v_addc_co_u32_e32 v1, vcc, v7, v1, vcc
	global_store_dwordx2 v[0:1], v[2:3], off
	v_add_u32_e32 v0, 0x1000, v6
	v_mov_b32_e32 v5, v27
	ds_read2_b64 v[0:3], v0 offset0:100 offset1:202
	v_lshlrev_b64 v[4:5], 3, v[4:5]
	v_add_co_u32_e32 v4, vcc, v8, v4
	v_addc_co_u32_e32 v5, vcc, v7, v5, vcc
	s_waitcnt lgkmcnt(0)
	global_store_dwordx2 v[4:5], v[0:1], off
	v_add_u32_e32 v0, 0x2ca, v26
	v_mov_b32_e32 v1, v27
	v_lshlrev_b64 v[0:1], 3, v[0:1]
	v_add_u32_e32 v4, 0x330, v26
	v_add_co_u32_e32 v0, vcc, v8, v0
	v_addc_co_u32_e32 v1, vcc, v7, v1, vcc
	global_store_dwordx2 v[0:1], v[2:3], off
	v_add_u32_e32 v0, 0x1800, v6
	v_mov_b32_e32 v5, v27
	ds_read2_b64 v[0:3], v0 offset0:48 offset1:150
	v_lshlrev_b64 v[4:5], 3, v[4:5]
	v_add_co_u32_e32 v4, vcc, v8, v4
	v_addc_co_u32_e32 v5, vcc, v7, v5, vcc
	s_waitcnt lgkmcnt(0)
	global_store_dwordx2 v[4:5], v[0:1], off
	v_add_u32_e32 v0, 0x396, v26
	v_mov_b32_e32 v1, v27
	v_lshlrev_b64 v[0:1], 3, v[0:1]
	v_add_u32_e32 v4, 0x3fc, v26
	v_add_co_u32_e32 v0, vcc, v8, v0
	v_addc_co_u32_e32 v1, vcc, v7, v1, vcc
	global_store_dwordx2 v[0:1], v[2:3], off
	v_add_u32_e32 v0, 0x1c00, v6
	v_mov_b32_e32 v5, v27
	ds_read2_b64 v[0:3], v0 offset0:124 offset1:226
	v_lshlrev_b64 v[4:5], 3, v[4:5]
	v_add_co_u32_e32 v4, vcc, v8, v4
	v_addc_co_u32_e32 v5, vcc, v7, v5, vcc
	s_waitcnt lgkmcnt(0)
	global_store_dwordx2 v[4:5], v[0:1], off
	v_add_u32_e32 v0, 0x462, v26
	v_mov_b32_e32 v1, v27
	v_lshlrev_b64 v[0:1], 3, v[0:1]
	v_add_u32_e32 v4, 0x4c8, v26
	v_add_co_u32_e32 v0, vcc, v8, v0
	v_addc_co_u32_e32 v1, vcc, v7, v1, vcc
	global_store_dwordx2 v[0:1], v[2:3], off
	v_add_u32_e32 v0, 0x2400, v6
	v_mov_b32_e32 v5, v27
	ds_read2_b64 v[0:3], v0 offset0:72 offset1:174
	v_lshlrev_b64 v[4:5], 3, v[4:5]
	v_add_co_u32_e32 v4, vcc, v8, v4
	v_addc_co_u32_e32 v5, vcc, v7, v5, vcc
	s_waitcnt lgkmcnt(0)
	global_store_dwordx2 v[4:5], v[0:1], off
	v_add_u32_e32 v0, 0x52e, v26
	v_mov_b32_e32 v1, v27
	v_lshlrev_b64 v[0:1], 3, v[0:1]
	v_add_u32_e32 v4, 0x594, v26
	v_add_co_u32_e32 v0, vcc, v8, v0
	v_addc_co_u32_e32 v1, vcc, v7, v1, vcc
	global_store_dwordx2 v[0:1], v[2:3], off
	v_add_u32_e32 v0, 0x2800, v6
	v_mov_b32_e32 v5, v27
	ds_read2_b64 v[0:3], v0 offset0:148 offset1:250
	v_lshlrev_b64 v[4:5], 3, v[4:5]
	v_add_co_u32_e32 v4, vcc, v8, v4
	v_addc_co_u32_e32 v5, vcc, v7, v5, vcc
	s_waitcnt lgkmcnt(0)
	global_store_dwordx2 v[4:5], v[0:1], off
	v_add_u32_e32 v0, 0x5fa, v26
	v_mov_b32_e32 v1, v27
	v_lshlrev_b64 v[0:1], 3, v[0:1]
	v_add_u32_e32 v26, 0x660, v26
	v_add_co_u32_e32 v0, vcc, v8, v0
	v_addc_co_u32_e32 v1, vcc, v7, v1, vcc
	global_store_dwordx2 v[0:1], v[2:3], off
	ds_read_b64 v[0:1], v6 offset:13056
	v_lshlrev_b64 v[2:3], 3, v[26:27]
	v_add_co_u32_e32 v2, vcc, v8, v2
	v_addc_co_u32_e32 v3, vcc, v7, v3, vcc
	s_waitcnt lgkmcnt(0)
	global_store_dwordx2 v[2:3], v[0:1], off
.LBB0_27:
	s_endpgm
	.section	.rodata,"a",@progbits
	.p2align	6, 0x0
	.amdhsa_kernel fft_rtc_back_len1734_factors_17_17_6_wgs_102_tpt_102_halfLds_sp_op_CI_CI_unitstride_sbrr_C2R_dirReg
		.amdhsa_group_segment_fixed_size 0
		.amdhsa_private_segment_fixed_size 0
		.amdhsa_kernarg_size 104
		.amdhsa_user_sgpr_count 6
		.amdhsa_user_sgpr_private_segment_buffer 1
		.amdhsa_user_sgpr_dispatch_ptr 0
		.amdhsa_user_sgpr_queue_ptr 0
		.amdhsa_user_sgpr_kernarg_segment_ptr 1
		.amdhsa_user_sgpr_dispatch_id 0
		.amdhsa_user_sgpr_flat_scratch_init 0
		.amdhsa_user_sgpr_private_segment_size 0
		.amdhsa_uses_dynamic_stack 0
		.amdhsa_system_sgpr_private_segment_wavefront_offset 0
		.amdhsa_system_sgpr_workgroup_id_x 1
		.amdhsa_system_sgpr_workgroup_id_y 0
		.amdhsa_system_sgpr_workgroup_id_z 0
		.amdhsa_system_sgpr_workgroup_info 0
		.amdhsa_system_vgpr_workitem_id 0
		.amdhsa_next_free_vgpr 80
		.amdhsa_next_free_sgpr 28
		.amdhsa_reserve_vcc 1
		.amdhsa_reserve_flat_scratch 0
		.amdhsa_float_round_mode_32 0
		.amdhsa_float_round_mode_16_64 0
		.amdhsa_float_denorm_mode_32 3
		.amdhsa_float_denorm_mode_16_64 3
		.amdhsa_dx10_clamp 1
		.amdhsa_ieee_mode 1
		.amdhsa_fp16_overflow 0
		.amdhsa_exception_fp_ieee_invalid_op 0
		.amdhsa_exception_fp_denorm_src 0
		.amdhsa_exception_fp_ieee_div_zero 0
		.amdhsa_exception_fp_ieee_overflow 0
		.amdhsa_exception_fp_ieee_underflow 0
		.amdhsa_exception_fp_ieee_inexact 0
		.amdhsa_exception_int_div_zero 0
	.end_amdhsa_kernel
	.text
.Lfunc_end0:
	.size	fft_rtc_back_len1734_factors_17_17_6_wgs_102_tpt_102_halfLds_sp_op_CI_CI_unitstride_sbrr_C2R_dirReg, .Lfunc_end0-fft_rtc_back_len1734_factors_17_17_6_wgs_102_tpt_102_halfLds_sp_op_CI_CI_unitstride_sbrr_C2R_dirReg
                                        ; -- End function
	.section	.AMDGPU.csdata,"",@progbits
; Kernel info:
; codeLenInByte = 16104
; NumSgprs: 32
; NumVgprs: 80
; ScratchSize: 0
; MemoryBound: 0
; FloatMode: 240
; IeeeMode: 1
; LDSByteSize: 0 bytes/workgroup (compile time only)
; SGPRBlocks: 3
; VGPRBlocks: 19
; NumSGPRsForWavesPerEU: 32
; NumVGPRsForWavesPerEU: 80
; Occupancy: 3
; WaveLimiterHint : 1
; COMPUTE_PGM_RSRC2:SCRATCH_EN: 0
; COMPUTE_PGM_RSRC2:USER_SGPR: 6
; COMPUTE_PGM_RSRC2:TRAP_HANDLER: 0
; COMPUTE_PGM_RSRC2:TGID_X_EN: 1
; COMPUTE_PGM_RSRC2:TGID_Y_EN: 0
; COMPUTE_PGM_RSRC2:TGID_Z_EN: 0
; COMPUTE_PGM_RSRC2:TIDIG_COMP_CNT: 0
	.type	__hip_cuid_648227d889ac6fbf,@object ; @__hip_cuid_648227d889ac6fbf
	.section	.bss,"aw",@nobits
	.globl	__hip_cuid_648227d889ac6fbf
__hip_cuid_648227d889ac6fbf:
	.byte	0                               ; 0x0
	.size	__hip_cuid_648227d889ac6fbf, 1

	.ident	"AMD clang version 19.0.0git (https://github.com/RadeonOpenCompute/llvm-project roc-6.4.0 25133 c7fe45cf4b819c5991fe208aaa96edf142730f1d)"
	.section	".note.GNU-stack","",@progbits
	.addrsig
	.addrsig_sym __hip_cuid_648227d889ac6fbf
	.amdgpu_metadata
---
amdhsa.kernels:
  - .args:
      - .actual_access:  read_only
        .address_space:  global
        .offset:         0
        .size:           8
        .value_kind:     global_buffer
      - .offset:         8
        .size:           8
        .value_kind:     by_value
      - .actual_access:  read_only
        .address_space:  global
        .offset:         16
        .size:           8
        .value_kind:     global_buffer
      - .actual_access:  read_only
        .address_space:  global
        .offset:         24
        .size:           8
        .value_kind:     global_buffer
      - .actual_access:  read_only
        .address_space:  global
        .offset:         32
        .size:           8
        .value_kind:     global_buffer
      - .offset:         40
        .size:           8
        .value_kind:     by_value
      - .actual_access:  read_only
        .address_space:  global
        .offset:         48
        .size:           8
        .value_kind:     global_buffer
      - .actual_access:  read_only
        .address_space:  global
        .offset:         56
        .size:           8
        .value_kind:     global_buffer
      - .offset:         64
        .size:           4
        .value_kind:     by_value
      - .actual_access:  read_only
        .address_space:  global
        .offset:         72
        .size:           8
        .value_kind:     global_buffer
      - .actual_access:  read_only
        .address_space:  global
        .offset:         80
        .size:           8
        .value_kind:     global_buffer
      - .actual_access:  read_only
        .address_space:  global
        .offset:         88
        .size:           8
        .value_kind:     global_buffer
      - .actual_access:  write_only
        .address_space:  global
        .offset:         96
        .size:           8
        .value_kind:     global_buffer
    .group_segment_fixed_size: 0
    .kernarg_segment_align: 8
    .kernarg_segment_size: 104
    .language:       OpenCL C
    .language_version:
      - 2
      - 0
    .max_flat_workgroup_size: 102
    .name:           fft_rtc_back_len1734_factors_17_17_6_wgs_102_tpt_102_halfLds_sp_op_CI_CI_unitstride_sbrr_C2R_dirReg
    .private_segment_fixed_size: 0
    .sgpr_count:     32
    .sgpr_spill_count: 0
    .symbol:         fft_rtc_back_len1734_factors_17_17_6_wgs_102_tpt_102_halfLds_sp_op_CI_CI_unitstride_sbrr_C2R_dirReg.kd
    .uniform_work_group_size: 1
    .uses_dynamic_stack: false
    .vgpr_count:     80
    .vgpr_spill_count: 0
    .wavefront_size: 64
amdhsa.target:   amdgcn-amd-amdhsa--gfx906
amdhsa.version:
  - 1
  - 2
...

	.end_amdgpu_metadata
